;; amdgpu-corpus repo=ROCm/rocFFT kind=compiled arch=gfx950 opt=O3
	.text
	.amdgcn_target "amdgcn-amd-amdhsa--gfx950"
	.amdhsa_code_object_version 6
	.protected	fft_rtc_back_len3240_factors_3_3_10_6_6_wgs_108_tpt_108_halfLds_sp_ip_CI_unitstride_sbrr_dirReg ; -- Begin function fft_rtc_back_len3240_factors_3_3_10_6_6_wgs_108_tpt_108_halfLds_sp_ip_CI_unitstride_sbrr_dirReg
	.globl	fft_rtc_back_len3240_factors_3_3_10_6_6_wgs_108_tpt_108_halfLds_sp_ip_CI_unitstride_sbrr_dirReg
	.p2align	8
	.type	fft_rtc_back_len3240_factors_3_3_10_6_6_wgs_108_tpt_108_halfLds_sp_ip_CI_unitstride_sbrr_dirReg,@function
fft_rtc_back_len3240_factors_3_3_10_6_6_wgs_108_tpt_108_halfLds_sp_ip_CI_unitstride_sbrr_dirReg: ; @fft_rtc_back_len3240_factors_3_3_10_6_6_wgs_108_tpt_108_halfLds_sp_ip_CI_unitstride_sbrr_dirReg
; %bb.0:
	s_load_dwordx2 s[8:9], s[0:1], 0x50
	s_load_dwordx4 s[4:7], s[0:1], 0x0
	s_load_dwordx2 s[10:11], s[0:1], 0x18
	v_mul_u32_u24_e32 v1, 0x25f, v0
	v_add_u32_sdwa v6, s2, v1 dst_sel:DWORD dst_unused:UNUSED_PAD src0_sel:DWORD src1_sel:WORD_1
	v_mov_b32_e32 v4, 0
	s_waitcnt lgkmcnt(0)
	v_cmp_lt_u64_e64 s[2:3], s[6:7], 2
	v_mov_b32_e32 v7, v4
	s_and_b64 vcc, exec, s[2:3]
	v_mov_b64_e32 v[2:3], 0
	s_cbranch_vccnz .LBB0_8
; %bb.1:
	s_load_dwordx2 s[2:3], s[0:1], 0x10
	s_add_u32 s12, s10, 8
	s_addc_u32 s13, s11, 0
	s_mov_b64 s[14:15], 1
	v_mov_b64_e32 v[2:3], 0
	s_waitcnt lgkmcnt(0)
	s_add_u32 s16, s2, 8
	s_addc_u32 s17, s3, 0
.LBB0_2:                                ; =>This Inner Loop Header: Depth=1
	s_load_dwordx2 s[18:19], s[16:17], 0x0
                                        ; implicit-def: $vgpr8_vgpr9
	s_waitcnt lgkmcnt(0)
	v_or_b32_e32 v5, s19, v7
	v_cmp_ne_u64_e32 vcc, 0, v[4:5]
	s_and_saveexec_b64 s[2:3], vcc
	s_xor_b64 s[20:21], exec, s[2:3]
	s_cbranch_execz .LBB0_4
; %bb.3:                                ;   in Loop: Header=BB0_2 Depth=1
	v_cvt_f32_u32_e32 v1, s18
	v_cvt_f32_u32_e32 v5, s19
	s_sub_u32 s2, 0, s18
	s_subb_u32 s3, 0, s19
	v_fmac_f32_e32 v1, 0x4f800000, v5
	v_rcp_f32_e32 v1, v1
	s_nop 0
	v_mul_f32_e32 v1, 0x5f7ffffc, v1
	v_mul_f32_e32 v5, 0x2f800000, v1
	v_trunc_f32_e32 v5, v5
	v_fmac_f32_e32 v1, 0xcf800000, v5
	v_cvt_u32_f32_e32 v5, v5
	v_cvt_u32_f32_e32 v1, v1
	v_mul_lo_u32 v8, s2, v5
	v_mul_hi_u32 v10, s2, v1
	v_mul_lo_u32 v9, s3, v1
	v_add_u32_e32 v10, v10, v8
	v_mul_lo_u32 v12, s2, v1
	v_add_u32_e32 v13, v10, v9
	v_mul_hi_u32 v8, v1, v12
	v_mul_hi_u32 v11, v1, v13
	v_mul_lo_u32 v10, v1, v13
	v_mov_b32_e32 v9, v4
	v_lshl_add_u64 v[8:9], v[8:9], 0, v[10:11]
	v_mul_hi_u32 v11, v5, v12
	v_mul_lo_u32 v12, v5, v12
	v_add_co_u32_e32 v8, vcc, v8, v12
	v_mul_hi_u32 v10, v5, v13
	s_nop 0
	v_addc_co_u32_e32 v8, vcc, v9, v11, vcc
	v_mov_b32_e32 v9, v4
	s_nop 0
	v_addc_co_u32_e32 v11, vcc, 0, v10, vcc
	v_mul_lo_u32 v10, v5, v13
	v_lshl_add_u64 v[8:9], v[8:9], 0, v[10:11]
	v_add_co_u32_e32 v1, vcc, v1, v8
	v_mul_lo_u32 v10, s2, v1
	s_nop 0
	v_addc_co_u32_e32 v5, vcc, v5, v9, vcc
	v_mul_lo_u32 v8, s2, v5
	v_mul_hi_u32 v9, s2, v1
	v_add_u32_e32 v8, v9, v8
	v_mul_lo_u32 v9, s3, v1
	v_add_u32_e32 v12, v8, v9
	v_mul_hi_u32 v14, v5, v10
	v_mul_lo_u32 v15, v5, v10
	v_mul_hi_u32 v9, v1, v12
	v_mul_lo_u32 v8, v1, v12
	v_mul_hi_u32 v10, v1, v10
	v_mov_b32_e32 v11, v4
	v_lshl_add_u64 v[8:9], v[10:11], 0, v[8:9]
	v_add_co_u32_e32 v8, vcc, v8, v15
	v_mul_hi_u32 v13, v5, v12
	s_nop 0
	v_addc_co_u32_e32 v8, vcc, v9, v14, vcc
	v_mul_lo_u32 v10, v5, v12
	s_nop 0
	v_addc_co_u32_e32 v11, vcc, 0, v13, vcc
	v_mov_b32_e32 v9, v4
	v_lshl_add_u64 v[8:9], v[8:9], 0, v[10:11]
	v_add_co_u32_e32 v1, vcc, v1, v8
	v_mul_hi_u32 v10, v6, v1
	s_nop 0
	v_addc_co_u32_e32 v5, vcc, v5, v9, vcc
	v_mad_u64_u32 v[8:9], s[2:3], v6, v5, 0
	v_mov_b32_e32 v11, v4
	v_lshl_add_u64 v[8:9], v[10:11], 0, v[8:9]
	v_mad_u64_u32 v[12:13], s[2:3], v7, v1, 0
	v_add_co_u32_e32 v1, vcc, v8, v12
	v_mad_u64_u32 v[10:11], s[2:3], v7, v5, 0
	s_nop 0
	v_addc_co_u32_e32 v8, vcc, v9, v13, vcc
	v_mov_b32_e32 v9, v4
	s_nop 0
	v_addc_co_u32_e32 v11, vcc, 0, v11, vcc
	v_lshl_add_u64 v[8:9], v[8:9], 0, v[10:11]
	v_mul_lo_u32 v1, s19, v8
	v_mul_lo_u32 v5, s18, v9
	v_mad_u64_u32 v[10:11], s[2:3], s18, v8, 0
	v_add3_u32 v1, v11, v5, v1
	v_sub_u32_e32 v5, v7, v1
	v_mov_b32_e32 v11, s19
	v_sub_co_u32_e32 v14, vcc, v6, v10
	v_lshl_add_u64 v[12:13], v[8:9], 0, 1
	s_nop 0
	v_subb_co_u32_e64 v5, s[2:3], v5, v11, vcc
	v_subrev_co_u32_e64 v10, s[2:3], s18, v14
	v_subb_co_u32_e32 v1, vcc, v7, v1, vcc
	s_nop 0
	v_subbrev_co_u32_e64 v5, s[2:3], 0, v5, s[2:3]
	v_cmp_le_u32_e64 s[2:3], s19, v5
	v_cmp_le_u32_e32 vcc, s19, v1
	s_nop 0
	v_cndmask_b32_e64 v11, 0, -1, s[2:3]
	v_cmp_le_u32_e64 s[2:3], s18, v10
	s_nop 1
	v_cndmask_b32_e64 v10, 0, -1, s[2:3]
	v_cmp_eq_u32_e64 s[2:3], s19, v5
	s_nop 1
	v_cndmask_b32_e64 v5, v11, v10, s[2:3]
	v_lshl_add_u64 v[10:11], v[8:9], 0, 2
	v_cmp_ne_u32_e64 s[2:3], 0, v5
	s_nop 1
	v_cndmask_b32_e64 v5, v13, v11, s[2:3]
	v_cndmask_b32_e64 v11, 0, -1, vcc
	v_cmp_le_u32_e32 vcc, s18, v14
	s_nop 1
	v_cndmask_b32_e64 v13, 0, -1, vcc
	v_cmp_eq_u32_e32 vcc, s19, v1
	s_nop 1
	v_cndmask_b32_e32 v1, v11, v13, vcc
	v_cmp_ne_u32_e32 vcc, 0, v1
	v_cndmask_b32_e64 v1, v12, v10, s[2:3]
	s_nop 0
	v_cndmask_b32_e32 v9, v9, v5, vcc
	v_cndmask_b32_e32 v8, v8, v1, vcc
.LBB0_4:                                ;   in Loop: Header=BB0_2 Depth=1
	s_andn2_saveexec_b64 s[2:3], s[20:21]
	s_cbranch_execz .LBB0_6
; %bb.5:                                ;   in Loop: Header=BB0_2 Depth=1
	v_cvt_f32_u32_e32 v1, s18
	s_sub_i32 s20, 0, s18
	v_rcp_iflag_f32_e32 v1, v1
	s_nop 0
	v_mul_f32_e32 v1, 0x4f7ffffe, v1
	v_cvt_u32_f32_e32 v1, v1
	v_mul_lo_u32 v5, s20, v1
	v_mul_hi_u32 v5, v1, v5
	v_add_u32_e32 v1, v1, v5
	v_mul_hi_u32 v1, v6, v1
	v_mul_lo_u32 v5, v1, s18
	v_sub_u32_e32 v5, v6, v5
	v_add_u32_e32 v8, 1, v1
	v_subrev_u32_e32 v9, s18, v5
	v_cmp_le_u32_e32 vcc, s18, v5
	s_nop 1
	v_cndmask_b32_e32 v5, v5, v9, vcc
	v_cndmask_b32_e32 v1, v1, v8, vcc
	v_add_u32_e32 v8, 1, v1
	v_cmp_le_u32_e32 vcc, s18, v5
	v_mov_b32_e32 v9, v4
	s_nop 0
	v_cndmask_b32_e32 v8, v1, v8, vcc
.LBB0_6:                                ;   in Loop: Header=BB0_2 Depth=1
	s_or_b64 exec, exec, s[2:3]
	v_mad_u64_u32 v[10:11], s[2:3], v8, s18, 0
	s_load_dwordx2 s[2:3], s[12:13], 0x0
	v_mul_lo_u32 v1, v9, s18
	v_mul_lo_u32 v5, v8, s19
	v_add3_u32 v1, v11, v5, v1
	v_sub_co_u32_e32 v5, vcc, v6, v10
	s_add_u32 s14, s14, 1
	s_nop 0
	v_subb_co_u32_e32 v1, vcc, v7, v1, vcc
	s_addc_u32 s15, s15, 0
	s_waitcnt lgkmcnt(0)
	v_mul_lo_u32 v1, s2, v1
	v_mul_lo_u32 v6, s3, v5
	v_mad_u64_u32 v[2:3], s[2:3], s2, v5, v[2:3]
	s_add_u32 s12, s12, 8
	v_add3_u32 v3, v6, v3, v1
	s_addc_u32 s13, s13, 0
	v_mov_b64_e32 v[6:7], s[6:7]
	s_add_u32 s16, s16, 8
	v_cmp_ge_u64_e32 vcc, s[14:15], v[6:7]
	s_addc_u32 s17, s17, 0
	s_cbranch_vccnz .LBB0_9
; %bb.7:                                ;   in Loop: Header=BB0_2 Depth=1
	v_mov_b64_e32 v[6:7], v[8:9]
	s_branch .LBB0_2
.LBB0_8:
	v_mov_b64_e32 v[8:9], v[6:7]
.LBB0_9:
	s_lshl_b64 s[2:3], s[6:7], 3
	s_add_u32 s2, s10, s2
	s_addc_u32 s3, s11, s3
	s_load_dwordx2 s[6:7], s[2:3], 0x0
	s_load_dwordx2 s[10:11], s[0:1], 0x20
	s_mov_b32 s2, 0x25ed098
                                        ; implicit-def: $vgpr46
                                        ; implicit-def: $vgpr30
                                        ; implicit-def: $vgpr6
                                        ; implicit-def: $vgpr50
                                        ; implicit-def: $vgpr34
                                        ; implicit-def: $vgpr10
                                        ; implicit-def: $vgpr52
                                        ; implicit-def: $vgpr48
                                        ; implicit-def: $vgpr12
                                        ; implicit-def: $vgpr14
                                        ; implicit-def: $vgpr58
                                        ; implicit-def: $vgpr54
                                        ; implicit-def: $vgpr16
                                        ; implicit-def: $vgpr20
                                        ; implicit-def: $vgpr62
                                        ; implicit-def: $vgpr66
                                        ; implicit-def: $vgpr28
                                        ; implicit-def: $vgpr18
                                        ; implicit-def: $vgpr64
                                        ; implicit-def: $vgpr72
                                        ; implicit-def: $vgpr32
                                        ; implicit-def: $vgpr22
                                        ; implicit-def: $vgpr68
                                        ; implicit-def: $vgpr74
                                        ; implicit-def: $vgpr42
                                        ; implicit-def: $vgpr26
                                        ; implicit-def: $vgpr70
                                        ; implicit-def: $vgpr76
                                        ; implicit-def: $vgpr44
                                        ; implicit-def: $vgpr24
                                        ; implicit-def: $vgpr82
                                        ; implicit-def: $vgpr60
                                        ; implicit-def: $vgpr56
                                        ; implicit-def: $vgpr40
                                        ; implicit-def: $vgpr84
                                        ; implicit-def: $vgpr78
	s_waitcnt lgkmcnt(0)
	v_mul_lo_u32 v1, s6, v9
	v_mul_lo_u32 v4, s7, v8
	v_mad_u64_u32 v[2:3], s[0:1], s6, v8, v[2:3]
	v_add3_u32 v3, v4, v3, v1
	v_mul_hi_u32 v1, v0, s2
	v_mul_u32_u24_e32 v1, 0x6c, v1
	v_cmp_gt_u64_e64 s[0:1], s[10:11], v[8:9]
	v_sub_u32_e32 v36, v0, v1
	v_lshl_add_u64 v[38:39], v[2:3], 3, s[8:9]
                                        ; implicit-def: $vgpr0
                                        ; implicit-def: $vgpr4
                                        ; implicit-def: $vgpr2
                                        ; implicit-def: $vgpr8
	s_and_saveexec_b64 s[2:3], s[0:1]
	s_cbranch_execz .LBB0_11
; %bb.10:
	v_mov_b32_e32 v37, 0
	v_lshl_add_u64 v[0:1], v[36:37], 3, v[38:39]
	v_add_co_u32_e32 v2, vcc, 0x2000, v0
	s_movk_i32 s6, 0x5000
	s_nop 0
	v_addc_co_u32_e32 v3, vcc, 0, v1, vcc
	v_add_co_u32_e32 v30, vcc, 0x4000, v0
	global_load_dwordx2 v[26:27], v[2:3], off offset:2176
	global_load_dwordx2 v[84:85], v[0:1], off
	global_load_dwordx2 v[82:83], v[0:1], off offset:864
	global_load_dwordx2 v[70:71], v[0:1], off offset:1728
	;; [unrolled: 1-line block ×8, first 2 shown]
	v_addc_co_u32_e32 v31, vcc, 0, v1, vcc
	v_add_co_u32_e32 v34, vcc, s6, v0
	s_movk_i32 s6, 0x1000
	s_nop 0
	v_addc_co_u32_e32 v35, vcc, 0, v1, vcc
	v_add_co_u32_e32 v4, vcc, s6, v0
	s_movk_i32 s6, 0x3000
	s_nop 0
	;; [unrolled: 4-line block ×3, first 2 shown]
	v_addc_co_u32_e32 v49, vcc, 0, v1, vcc
	v_add_co_u32_e32 v54, vcc, s6, v0
	global_load_dwordx2 v[10:11], v[48:49], off offset:2400
	global_load_dwordx2 v[62:63], v[4:5], off offset:224
	;; [unrolled: 1-line block ×12, first 2 shown]
	v_addc_co_u32_e32 v55, vcc, 0, v1, vcc
	global_load_dwordx2 v[6:7], v[48:49], off offset:3264
	global_load_dwordx2 v[0:1], v[54:55], off offset:480
	;; [unrolled: 1-line block ×8, first 2 shown]
	s_waitcnt vmcnt(28)
	v_mov_b32_e32 v78, v85
	s_waitcnt vmcnt(27)
	v_mov_b32_e32 v60, v83
	;; [unrolled: 2-line block ×10, first 2 shown]
.LBB0_11:
	s_or_b64 exec, exec, s[2:3]
	s_waitcnt vmcnt(1)
	v_pk_add_f32 v[80:81], v[56:57], v[40:41]
	v_mov_b32_e32 v86, v40
	v_mul_f32_e32 v87, 0.5, v80
	v_pk_add_f32 v[86:87], v[84:85], v[86:87] op_sel_hi:[0,1] neg_lo:[0,1] neg_hi:[0,1]
	v_pk_add_f32 v[88:89], v[84:85], v[40:41]
	v_pk_add_f32 v[84:85], v[40:41], v[56:57] neg_lo:[0,1] neg_hi:[0,1]
	v_mov_b32_e32 v90, v56
	v_mul_f32_e32 v91, 0x3f5db3d7, v85
	v_pk_add_f32 v[88:89], v[88:89], v[56:57]
	v_pk_add_f32 v[90:91], v[86:87], v[90:91] neg_lo:[0,1] neg_hi:[0,1]
	v_mad_u32_u24 v125, v36, 12, 0
	v_pk_add_f32 v[118:119], v[44:45], v[24:25]
	ds_write2_b32 v125, v88, v91 offset1:1
	v_mul_f32_e32 v89, 0.5, v118
	v_mov_b32_e32 v88, v24
	v_pk_add_f32 v[88:89], v[82:83], v[88:89] op_sel_hi:[0,1] neg_lo:[0,1] neg_hi:[0,1]
	v_pk_add_f32 v[90:91], v[82:83], v[24:25]
	v_pk_add_f32 v[82:83], v[24:25], v[44:45] neg_lo:[0,1] neg_hi:[0,1]
	v_mov_b32_e32 v92, v44
	v_mul_f32_e32 v93, 0x3f5db3d7, v83
	v_pk_add_f32 v[92:93], v[88:89], v[92:93] neg_lo:[0,1] neg_hi:[0,1]
	v_fmac_f32_e32 v89, 0x3f5db3d7, v83
	v_fmac_f32_e32 v87, 0x3f5db3d7, v85
	ds_write_b32 v125, v89 offset:1304
	v_pk_add_f32 v[88:89], v[42:43], v[26:27]
	v_pk_add_f32 v[90:91], v[90:91], v[44:45]
	v_add_u32_e32 v130, 0x510, v125
	ds_write_b32 v125, v87 offset:8
	v_mul_f32_e32 v87, 0.5, v88
	v_mov_b32_e32 v86, v26
	ds_write2_b32 v130, v90, v93 offset1:1
	v_pk_add_f32 v[90:91], v[70:71], v[86:87] op_sel_hi:[0,1] neg_lo:[0,1] neg_hi:[0,1]
	v_pk_add_f32 v[86:87], v[26:27], v[42:43] neg_lo:[0,1] neg_hi:[0,1]
	v_pk_add_f32 v[70:71], v[70:71], v[26:27]
	v_mul_f32_e32 v93, 0x3f5db3d7, v87
	v_mov_b32_e32 v92, v42
	v_add_u32_e32 v37, 0xd8, v36
	v_pk_add_f32 v[70:71], v[70:71], v[42:43]
	v_pk_add_f32 v[92:93], v[90:91], v[92:93] neg_lo:[0,1] neg_hi:[0,1]
	v_mad_u32_u24 v80, v37, 12, 0
	ds_write2_b32 v80, v70, v93 offset1:1
	v_fmac_f32_e32 v91, 0x3f5db3d7, v87
	v_pk_add_f32 v[92:93], v[32:33], v[22:23]
	ds_write_b32 v80, v91 offset:8
	v_mul_f32_e32 v71, 0.5, v92
	v_mov_b32_e32 v70, v22
	v_pk_add_f32 v[90:91], v[22:23], v[32:33] neg_lo:[0,1] neg_hi:[0,1]
	v_pk_add_f32 v[70:71], v[68:69], v[70:71] op_sel_hi:[0,1] neg_lo:[0,1] neg_hi:[0,1]
	v_pk_add_f32 v[68:69], v[68:69], v[22:23]
	v_mul_f32_e32 v95, 0x3f5db3d7, v91
	v_mov_b32_e32 v94, v32
	v_add_u32_e32 v67, 0x144, v36
	v_pk_add_f32 v[68:69], v[68:69], v[32:33]
	v_pk_add_f32 v[94:95], v[70:71], v[94:95] neg_lo:[0,1] neg_hi:[0,1]
	v_mad_u32_u24 v85, v67, 12, 0
	v_pk_add_f32 v[96:97], v[28:29], v[18:19]
	ds_write2_b32 v85, v68, v95 offset1:1
	v_fmac_f32_e32 v71, 0x3f5db3d7, v91
	v_mul_f32_e32 v69, 0.5, v96
	v_mov_b32_e32 v68, v18
	v_pk_add_f32 v[94:95], v[18:19], v[28:29] neg_lo:[0,1] neg_hi:[0,1]
	ds_write_b32 v85, v71 offset:8
	v_pk_add_f32 v[68:69], v[64:65], v[68:69] op_sel_hi:[0,1] neg_lo:[0,1] neg_hi:[0,1]
	v_pk_add_f32 v[64:65], v[64:65], v[18:19]
	v_mul_f32_e32 v71, 0x3f5db3d7, v95
	v_mov_b32_e32 v70, v28
	v_add_u32_e32 v83, 0x1b0, v36
	v_pk_add_f32 v[64:65], v[64:65], v[28:29]
	v_pk_add_f32 v[70:71], v[68:69], v[70:71] neg_lo:[0,1] neg_hi:[0,1]
	v_mad_u32_u24 v87, v83, 12, 0
	v_pk_add_f32 v[100:101], v[16:17], v[20:21]
	ds_write2_b32 v87, v64, v71 offset1:1
	v_mul_f32_e32 v65, 0.5, v100
	v_mov_b32_e32 v64, v20
	v_fmac_f32_e32 v69, 0x3f5db3d7, v95
	v_pk_add_f32 v[64:65], v[62:63], v[64:65] op_sel_hi:[0,1] neg_lo:[0,1] neg_hi:[0,1]
	v_pk_add_f32 v[62:63], v[62:63], v[20:21]
	v_pk_add_f32 v[98:99], v[20:21], v[16:17] neg_lo:[0,1] neg_hi:[0,1]
	ds_write_b32 v87, v69 offset:8
	v_mul_f32_e32 v69, 0x3f5db3d7, v99
	v_mov_b32_e32 v68, v16
	v_pk_add_f32 v[62:63], v[62:63], v[16:17]
	v_add_u32_e32 v16, 0x21c, v36
	v_pk_add_f32 v[68:69], v[64:65], v[68:69] neg_lo:[0,1] neg_hi:[0,1]
	v_mad_u32_u24 v88, v16, 12, 0
	v_pk_add_f32 v[104:105], v[12:13], v[14:15]
	ds_write2_b32 v88, v62, v69 offset1:1
	v_fmac_f32_e32 v65, 0x3f5db3d7, v99
	v_mul_f32_e32 v63, 0.5, v104
	v_mov_b32_e32 v62, v14
	v_pk_add_f32 v[102:103], v[14:15], v[12:13] neg_lo:[0,1] neg_hi:[0,1]
	ds_write_b32 v88, v65 offset:8
	v_pk_add_f32 v[62:63], v[58:59], v[62:63] op_sel_hi:[0,1] neg_lo:[0,1] neg_hi:[0,1]
	v_pk_add_f32 v[58:59], v[58:59], v[14:15]
	v_mul_f32_e32 v65, 0x3f5db3d7, v103
	v_mov_b32_e32 v64, v12
	v_add_u32_e32 v124, 0x288, v36
	v_pk_add_f32 v[58:59], v[58:59], v[12:13]
	v_pk_add_f32 v[64:65], v[62:63], v[64:65] neg_lo:[0,1] neg_hi:[0,1]
	v_mad_u32_u24 v134, v124, 12, 0
	v_pk_add_f32 v[108:109], v[8:9], v[10:11]
	ds_write2_b32 v134, v58, v65 offset1:1
	v_fmac_f32_e32 v63, 0x3f5db3d7, v103
	v_mul_f32_e32 v59, 0.5, v108
	v_mov_b32_e32 v58, v10
	v_pk_add_f32 v[106:107], v[10:11], v[8:9] neg_lo:[0,1] neg_hi:[0,1]
	ds_write_b32 v134, v63 offset:8
	v_pk_add_f32 v[58:59], v[52:53], v[58:59] op_sel_hi:[0,1] neg_lo:[0,1] neg_hi:[0,1]
	v_pk_add_f32 v[52:53], v[52:53], v[10:11]
	v_mul_f32_e32 v63, 0x3f5db3d7, v107
	v_mov_b32_e32 v62, v8
	v_add_u32_e32 v123, 0x2f4, v36
	v_pk_add_f32 v[52:53], v[52:53], v[8:9]
	;; [unrolled: 15-line block ×3, first 2 shown]
	v_pk_add_f32 v[58:59], v[52:53], v[58:59] neg_lo:[0,1] neg_hi:[0,1]
	v_mad_u32_u24 v136, v122, 12, 0
	s_waitcnt vmcnt(0)
	v_pk_add_f32 v[116:117], v[0:1], v[4:5]
	ds_write2_b32 v136, v50, v59 offset1:1
	v_fmac_f32_e32 v53, 0x3f5db3d7, v111
	v_mul_f32_e32 v51, 0.5, v116
	v_mov_b32_e32 v50, v4
	v_pk_add_f32 v[114:115], v[4:5], v[0:1] neg_lo:[0,1] neg_hi:[0,1]
	ds_write_b32 v136, v53 offset:8
	v_pk_add_f32 v[50:51], v[46:47], v[50:51] op_sel_hi:[0,1] neg_lo:[0,1] neg_hi:[0,1]
	v_pk_add_f32 v[46:47], v[46:47], v[4:5]
	v_mul_f32_e32 v53, 0x3f5db3d7, v115
	v_mov_b32_e32 v52, v0
	v_add_u32_e32 v121, 0x3cc, v36
	v_pk_add_f32 v[46:47], v[46:47], v[0:1]
	v_pk_add_f32 v[52:53], v[50:51], v[52:53] neg_lo:[0,1] neg_hi:[0,1]
	v_mad_u32_u24 v137, v121, 12, 0
	v_mov_b32_e32 v0, v25
	ds_write2_b32 v137, v46, v53 offset1:1
	v_mov_b32_e32 v46, v25
	v_pk_add_f32 v[24:25], v[60:61], v[0:1] op_sel_hi:[0,1]
	v_lshlrev_b32_e32 v0, 3, v36
	v_mul_f32_e32 v47, 0.5, v119
	v_sub_u32_e32 v75, v125, v0
	v_lshlrev_b32_e32 v0, 3, v124
	v_pk_add_f32 v[126:127], v[60:61], v[46:47] op_sel_hi:[0,1] neg_lo:[0,1] neg_hi:[0,1]
	v_sub_u32_e32 v119, v134, v0
	v_lshlrev_b32_e32 v0, 3, v123
	v_mov_b32_e32 v44, v45
	v_mul_f32_e32 v45, 0x3f5db3d7, v82
	v_mov_b32_e32 v25, v127
	v_sub_u32_e32 v55, v135, v0
	v_lshlrev_b32_e32 v0, 3, v122
	v_lshlrev_b32_e32 v95, 3, v37
	v_fmac_f32_e32 v51, 0x3f5db3d7, v115
	v_pk_add_f32 v[128:129], v[44:45], v[24:25]
	v_sub_u32_e32 v56, v136, v0
	v_lshlrev_b32_e32 v0, 3, v121
	v_sub_u32_e32 v116, v80, v95
	v_lshlrev_b32_e32 v100, 3, v67
	v_lshlrev_b32_e32 v103, 3, v83
	;; [unrolled: 1-line block ×3, first 2 shown]
	ds_write_b32 v137, v51 offset:8
	s_waitcnt lgkmcnt(0)
	s_barrier
	v_sub_u32_e32 v120, v137, v0
	v_add_u32_e32 v77, 0x1000, v75
	v_add_u32_e32 v91, 0x2000, v75
	;; [unrolled: 1-line block ×4, first 2 shown]
	v_sub_u32_e32 v115, v85, v100
	v_sub_u32_e32 v73, v87, v103
	v_add_u32_e32 v104, 0x1600, v75
	v_add_u32_e32 v107, 0x2800, v75
	v_sub_u32_e32 v118, v88, v108
	v_add_u32_e32 v96, 0x1a00, v75
	v_add_u32_e32 v99, 0x2a00, v75
	;; [unrolled: 1-line block ×4, first 2 shown]
	ds_read_b32 v49, v116
	ds_read_b32 v42, v115
	;; [unrolled: 1-line block ×8, first 2 shown]
	ds_read2_b32 v[24:25], v75 offset1:108
	ds_read2_b32 v[70:71], v77 offset0:56 offset1:164
	ds_read2_b32 v[68:69], v91 offset0:112 offset1:220
	;; [unrolled: 1-line block ×10, first 2 shown]
	s_waitcnt lgkmcnt(0)
	s_barrier
	ds_write2_b32 v130, v128, v129 offset1:1
	v_mul_f32_e32 v129, 0.5, v81
	v_mov_b32_e32 v128, v41
	v_mov_b32_e32 v0, v41
	v_pk_add_f32 v[130:131], v[78:79], v[0:1] op_sel_hi:[0,1]
	v_pk_add_f32 v[128:129], v[78:79], v[128:129] op_sel_hi:[0,1] neg_lo:[0,1] neg_hi:[0,1]
	v_mov_b32_e32 v132, v57
	v_mul_f32_e32 v133, 0x3f5db3d7, v84
	v_mov_b32_e32 v131, v129
	v_pk_add_f32 v[130:131], v[132:133], v[130:131]
	v_fmac_f32_e32 v127, 0xbf5db3d7, v82
	v_fmac_f32_e32 v129, 0xbf5db3d7, v84
	ds_write2_b32 v125, v130, v131 offset1:1
	ds_write_b32 v125, v129 offset:8
	ds_write_b32 v125, v127 offset:1304
	v_mul_f32_e32 v127, 0.5, v89
	v_mov_b32_e32 v126, v27
	v_mov_b32_e32 v0, v27
	v_pk_add_f32 v[128:129], v[76:77], v[0:1] op_sel_hi:[0,1]
	v_pk_add_f32 v[126:127], v[76:77], v[126:127] op_sel_hi:[0,1] neg_lo:[0,1] neg_hi:[0,1]
	v_mov_b32_e32 v130, v43
	v_mul_f32_e32 v131, 0x3f5db3d7, v86
	v_mov_b32_e32 v129, v127
	v_pk_add_f32 v[128:129], v[130:131], v[128:129]
	v_fmac_f32_e32 v127, 0xbf5db3d7, v86
	ds_write2_b32 v80, v128, v129 offset1:1
	ds_write_b32 v80, v127 offset:8
	v_mul_f32_e32 v127, 0.5, v93
	v_mov_b32_e32 v126, v23
	v_mov_b32_e32 v0, v23
	v_pk_add_f32 v[22:23], v[74:75], v[0:1] op_sel_hi:[0,1]
	v_pk_add_f32 v[126:127], v[74:75], v[126:127] op_sel_hi:[0,1] neg_lo:[0,1] neg_hi:[0,1]
	v_mov_b32_e32 v128, v33
	v_mul_f32_e32 v129, 0x3f5db3d7, v90
	v_mov_b32_e32 v23, v127
	v_pk_add_f32 v[22:23], v[128:129], v[22:23]
	v_fmac_f32_e32 v127, 0xbf5db3d7, v90
	ds_write2_b32 v85, v22, v23 offset1:1
	;; [unrolled: 12-line block ×7, first 2 shown]
	ds_write_b32 v136, v9 offset:8
	v_mul_f32_e32 v3, 0.5, v117
	v_mov_b32_e32 v2, v5
	v_mov_b32_e32 v0, v5
	v_pk_add_f32 v[4:5], v[30:31], v[0:1] op_sel_hi:[0,1]
	v_pk_add_f32 v[2:3], v[30:31], v[2:3] op_sel_hi:[0,1] neg_lo:[0,1] neg_hi:[0,1]
	v_mov_b32_e32 v0, v1
	v_mul_f32_e32 v1, 0x3f5db3d7, v114
	v_mov_b32_e32 v5, v3
	v_pk_add_f32 v[0:1], v[0:1], v[4:5]
	s_movk_i32 s2, 0xab
	v_fmac_f32_e32 v3, 0xbf5db3d7, v114
	ds_write2_b32 v137, v0, v1 offset1:1
	ds_write_b32 v137, v3 offset:8
	v_mul_lo_u16_sdwa v0, v36, s2 dst_sel:DWORD dst_unused:UNUSED_PAD src0_sel:BYTE_0 src1_sel:DWORD
	v_lshrrev_b16_e32 v30, 9, v0
	v_mul_lo_u16_e32 v0, 3, v30
	v_sub_u16_e32 v33, v36, v0
	v_mov_b32_e32 v0, 4
	v_lshlrev_b32_sdwa v1, v0, v33 dst_sel:DWORD dst_unused:UNUSED_PAD src0_sel:DWORD src1_sel:BYTE_0
	v_add_u32_e32 v66, 0x6c, v36
	s_waitcnt lgkmcnt(0)
	s_barrier
	global_load_dwordx4 v[4:7], v1, s[4:5]
	v_mul_lo_u16_sdwa v1, v66, s2 dst_sel:DWORD dst_unused:UNUSED_PAD src0_sel:BYTE_0 src1_sel:DWORD
	v_lshrrev_b16_e32 v27, 9, v1
	v_mul_lo_u16_e32 v1, 3, v27
	s_mov_b32 s2, 0xaaab
	v_sub_u16_e32 v29, v66, v1
	v_mul_u32_u24_sdwa v8, v37, s2 dst_sel:DWORD dst_unused:UNUSED_PAD src0_sel:WORD_0 src1_sel:DWORD
	v_lshlrev_b32_sdwa v0, v0, v29 dst_sel:DWORD dst_unused:UNUSED_PAD src0_sel:DWORD src1_sel:BYTE_0
	v_lshrrev_b32_e32 v34, 17, v8
	global_load_dwordx4 v[0:3], v0, s[4:5]
	v_mul_lo_u16_e32 v8, 3, v34
	v_sub_u16_e32 v41, v37, v8
	v_lshlrev_b32_e32 v8, 4, v41
	global_load_dwordx4 v[12:15], v8, s[4:5]
	v_mul_u32_u24_sdwa v8, v67, s2 dst_sel:DWORD dst_unused:UNUSED_PAD src0_sel:WORD_0 src1_sel:DWORD
	v_lshrrev_b32_e32 v48, 17, v8
	v_mul_lo_u16_e32 v8, 3, v48
	v_sub_u16_e32 v43, v67, v8
	v_mul_u32_u24_sdwa v17, v83, s2 dst_sel:DWORD dst_unused:UNUSED_PAD src0_sel:WORD_0 src1_sel:DWORD
	v_mul_u32_u24_sdwa v76, v124, s2 dst_sel:DWORD dst_unused:UNUSED_PAD src0_sel:WORD_0 src1_sel:DWORD
	v_lshlrev_b32_e32 v8, 4, v43
	v_lshrrev_b32_e32 v54, 17, v17
	v_lshrrev_b32_e32 v76, 17, v76
	global_load_dwordx4 v[8:11], v8, s[4:5]
	v_mul_lo_u16_e32 v17, 3, v54
	v_mul_lo_u16_e32 v78, 3, v76
	v_sub_u16_e32 v57, v83, v17
	v_sub_u16_e32 v78, v124, v78
	v_lshlrev_b32_e32 v17, 4, v57
	v_lshlrev_b32_e32 v81, 4, v78
	global_load_dwordx4 v[20:23], v17, s[4:5]
	global_load_dwordx4 v[124:127], v81, s[4:5]
	v_mul_u32_u24_sdwa v17, v16, s2 dst_sel:DWORD dst_unused:UNUSED_PAD src0_sel:WORD_0 src1_sel:DWORD
	v_lshrrev_b32_e32 v72, 17, v17
	v_mul_lo_u16_e32 v17, 3, v72
	v_sub_u16_e32 v74, v16, v17
	v_lshlrev_b32_e32 v16, 4, v74
	global_load_dwordx4 v[16:19], v16, s[4:5]
	v_mul_u32_u24_sdwa v81, v123, s2 dst_sel:DWORD dst_unused:UNUSED_PAD src0_sel:WORD_0 src1_sel:DWORD
	v_lshrrev_b32_e32 v81, 17, v81
	v_mul_u32_u24_sdwa v90, v121, s2 dst_sel:DWORD dst_unused:UNUSED_PAD src0_sel:WORD_0 src1_sel:DWORD
	v_mul_lo_u16_e32 v82, 3, v81
	v_lshrrev_b32_e32 v90, 17, v90
	v_sub_u16_e32 v82, v123, v82
	v_mul_lo_u16_e32 v93, 3, v90
	v_lshlrev_b32_e32 v84, 4, v82
	v_sub_u16_e32 v93, v121, v93
	global_load_dwordx4 v[128:131], v84, s[4:5]
	v_lshlrev_b32_e32 v94, 4, v93
	global_load_dwordx4 v[136:139], v94, s[4:5]
	v_mul_u32_u24_sdwa v84, v122, s2 dst_sel:DWORD dst_unused:UNUSED_PAD src0_sel:WORD_0 src1_sel:DWORD
	v_lshrrev_b32_e32 v84, 17, v84
	v_mul_lo_u16_e32 v86, 3, v84
	v_sub_u16_e32 v86, v122, v86
	v_lshlrev_b32_e32 v89, 4, v86
	global_load_dwordx4 v[132:135], v89, s[4:5]
	ds_read2_b32 v[140:141], v77 offset0:56 offset1:164
	ds_read2_b32 v[122:123], v91 offset0:112 offset1:220
	v_mul_u32_u24_e32 v27, 36, v27
	s_mov_b32 s2, 0x5040100
	s_mov_b32 s8, 0.5
	s_movk_i32 s11, 0x1000
	s_movk_i32 s10, 0x2000
	s_mov_b32 s6, -0.5
	s_waitcnt vmcnt(9) lgkmcnt(1)
	v_mul_f32_e32 v89, v140, v5
	v_mul_f32_e32 v5, v70, v5
	v_fmac_f32_e32 v89, v70, v4
	v_fma_f32 v4, v140, v4, -v5
	s_waitcnt lgkmcnt(0)
	v_mul_f32_e32 v5, v122, v7
	v_mul_f32_e32 v7, v68, v7
	v_fmac_f32_e32 v5, v68, v6
	v_fma_f32 v6, v122, v6, -v7
	s_waitcnt vmcnt(8)
	v_mul_f32_e32 v7, v141, v1
	v_mul_f32_e32 v1, v71, v1
	v_fmac_f32_e32 v7, v71, v0
	v_fma_f32 v68, v141, v0, -v1
	v_mul_f32_e32 v70, v123, v3
	ds_read2_b32 v[0:1], v79 offset0:16 offset1:124
	v_mul_f32_e32 v3, v69, v3
	v_fmac_f32_e32 v70, v69, v2
	v_fma_f32 v69, v123, v2, -v3
	ds_read2_b32 v[2:3], v92 offset0:72 offset1:180
	s_waitcnt vmcnt(7) lgkmcnt(1)
	v_mul_f32_e32 v71, v0, v13
	v_mul_f32_e32 v13, v64, v13
	v_fmac_f32_e32 v71, v64, v12
	v_fma_f32 v12, v0, v12, -v13
	s_waitcnt lgkmcnt(0)
	v_mul_f32_e32 v13, v2, v15
	v_mul_f32_e32 v0, v62, v15
	v_fmac_f32_e32 v13, v62, v14
	v_fma_f32 v14, v2, v14, -v0
	s_waitcnt vmcnt(6)
	v_mul_f32_e32 v15, v1, v9
	v_mul_f32_e32 v0, v65, v9
	v_fmac_f32_e32 v15, v65, v8
	v_fma_f32 v8, v1, v8, -v0
	v_mul_f32_e32 v9, v3, v11
	ds_read2_b32 v[0:1], v104 offset0:104 offset1:212
	v_mul_f32_e32 v2, v63, v11
	v_fmac_f32_e32 v9, v63, v10
	v_fma_f32 v10, v3, v10, -v2
	ds_read2_b32 v[2:3], v107 offset0:32 offset1:140
	s_waitcnt vmcnt(5) lgkmcnt(1)
	v_mul_f32_e32 v11, v0, v21
	v_mul_f32_e32 v21, v60, v21
	v_fmac_f32_e32 v11, v60, v20
	v_fma_f32 v20, v0, v20, -v21
	s_waitcnt lgkmcnt(0)
	v_mul_f32_e32 v21, v2, v23
	v_mul_f32_e32 v0, v58, v23
	v_fmac_f32_e32 v21, v58, v22
	v_fma_f32 v22, v2, v22, -v0
	s_waitcnt vmcnt(3)
	v_mul_f32_e32 v23, v1, v17
	v_mul_f32_e32 v0, v61, v17
	v_fmac_f32_e32 v23, v61, v16
	v_fma_f32 v16, v1, v16, -v0
	ds_read2_b32 v[0:1], v96 offset0:64 offset1:172
	v_mul_f32_e32 v17, v3, v19
	v_mul_f32_e32 v2, v59, v19
	v_fmac_f32_e32 v17, v59, v18
	v_fma_f32 v18, v3, v18, -v2
	ds_read2_b32 v[2:3], v99 offset0:120 offset1:228
	s_waitcnt lgkmcnt(1)
	v_mul_f32_e32 v19, v0, v125
	v_fmac_f32_e32 v19, v52, v124
	v_mul_f32_e32 v52, v52, v125
	v_fma_f32 v62, v0, v124, -v52
	v_mul_f32_e32 v0, v50, v127
	s_waitcnt lgkmcnt(0)
	v_fma_f32 v94, v2, v126, -v0
	s_waitcnt vmcnt(2)
	v_mul_f32_e32 v0, v53, v129
	v_mul_f32_e32 v97, v1, v129
	v_fma_f32 v98, v1, v128, -v0
	ds_read2_b32 v[0:1], v111 offset0:24 offset1:132
	v_mul_f32_e32 v63, v2, v127
	v_mul_f32_e32 v2, v51, v131
	;; [unrolled: 1-line block ×3, first 2 shown]
	v_fma_f32 v102, v3, v130, -v2
	ds_read2_b32 v[2:3], v112 offset0:80 offset1:188
	s_waitcnt vmcnt(0) lgkmcnt(1)
	v_mul_f32_e32 v105, v0, v133
	v_fmac_f32_e32 v105, v46, v132
	v_mul_f32_e32 v46, v46, v133
	v_fma_f32 v106, v0, v132, -v46
	v_mul_f32_e32 v0, v44, v135
	s_waitcnt lgkmcnt(0)
	v_mul_f32_e32 v109, v2, v135
	v_fma_f32 v2, v2, v134, -v0
	v_mul_f32_e32 v0, v47, v137
	v_fma_f32 v113, v1, v136, -v0
	v_mul_f32_e32 v0, v45, v139
	v_mov_b32_e32 v64, 2
	v_mul_f32_e32 v110, v1, v137
	v_mul_f32_e32 v114, v3, v139
	v_fma_f32 v3, v3, v138, -v0
	v_mul_u32_u24_e32 v0, 36, v30
	v_lshlrev_b32_sdwa v1, v64, v33 dst_sel:DWORD dst_unused:UNUSED_PAD src0_sel:DWORD src1_sel:BYTE_0
	v_add3_u32 v33, 0, v0, v1
	v_add_f32_e32 v0, v24, v89
	v_add_f32_e32 v30, v0, v5
	;; [unrolled: 1-line block ×3, first 2 shown]
	v_fmac_f32_e32 v109, v44, v134
	v_fma_f32 v24, -0.5, v0, v24
	v_sub_f32_e32 v44, v4, v6
	v_fmac_f32_e32 v114, v45, v138
	v_fmamk_f32 v45, v44, 0xbf5db3d7, v24
	v_fmac_f32_e32 v24, 0x3f5db3d7, v44
	v_add_f32_e32 v44, v7, v70
	v_lshlrev_b32_sdwa v29, v64, v29 dst_sel:DWORD dst_unused:UNUSED_PAD src0_sel:DWORD src1_sel:BYTE_0
	v_fmac_f32_e32 v63, v50, v126
	ds_read_b32 v117, v116
	ds_read_b32 v121, v115
	;; [unrolled: 1-line block ×8, first 2 shown]
	ds_read2_b32 v[0:1], v75 offset1:108
	s_waitcnt lgkmcnt(0)
	s_barrier
	ds_write2_b32 v33, v30, v45 offset1:3
	v_add_f32_e32 v30, v25, v7
	v_fmac_f32_e32 v25, -0.5, v44
	v_add3_u32 v27, 0, v27, v29
	v_sub_f32_e32 v29, v68, v69
	ds_write_b32 v33, v24 offset:24
	v_add_f32_e32 v24, v30, v70
	v_fmamk_f32 v30, v29, 0xbf5db3d7, v25
	v_fmac_f32_e32 v25, 0x3f5db3d7, v29
	ds_write_b32 v27, v25 offset:24
	v_add_f32_e32 v25, v71, v13
	ds_write2_b32 v27, v24, v30 offset1:3
	v_add_f32_e32 v24, v49, v71
	v_fmac_f32_e32 v49, -0.5, v25
	v_perm_b32 v25, v48, v34, s2
	v_pk_mul_lo_u16 v25, v25, 36 op_sel_hi:[1,0]
	v_lshlrev_b32_e32 v29, 2, v41
	v_and_b32_e32 v30, 0xfffc, v25
	v_add3_u32 v34, 0, v30, v29
	v_sub_f32_e32 v29, v12, v14
	v_add_f32_e32 v24, v24, v13
	v_fmamk_f32 v30, v29, 0xbf5db3d7, v49
	v_fmac_f32_e32 v49, 0x3f5db3d7, v29
	v_add_f32_e32 v29, v15, v9
	ds_write2_b32 v34, v24, v30 offset1:3
	v_add_f32_e32 v24, v42, v15
	v_fmac_f32_e32 v42, -0.5, v29
	v_lshrrev_b32_e32 v25, 16, v25
	v_lshlrev_b32_e32 v29, 2, v43
	v_add3_u32 v25, 0, v25, v29
	v_sub_f32_e32 v29, v8, v10
	v_add_f32_e32 v24, v24, v9
	v_fmamk_f32 v30, v29, 0xbf5db3d7, v42
	v_fmac_f32_e32 v42, 0x3f5db3d7, v29
	v_add_f32_e32 v29, v11, v21
	ds_write_b32 v34, v49 offset:24
	ds_write2_b32 v25, v24, v30 offset1:3
	v_add_f32_e32 v24, v40, v11
	v_fmac_f32_e32 v40, -0.5, v29
	v_perm_b32 v29, v72, v54, s2
	v_pk_mul_lo_u16 v29, v29, 36 op_sel_hi:[1,0]
	v_lshlrev_b32_e32 v30, 2, v57
	v_and_b32_e32 v41, 0xfffc, v29
	v_add3_u32 v72, 0, v41, v30
	v_sub_f32_e32 v30, v20, v22
	v_add_f32_e32 v24, v24, v21
	v_fmamk_f32 v41, v30, 0xbf5db3d7, v40
	v_fmac_f32_e32 v40, 0x3f5db3d7, v30
	v_add_f32_e32 v30, v23, v17
	ds_write_b32 v25, v42 offset:24
	ds_write2_b32 v72, v24, v41 offset1:3
	v_add_f32_e32 v24, v35, v23
	v_fmac_f32_e32 v35, -0.5, v30
	v_lshrrev_b32_e32 v29, 16, v29
	v_lshlrev_b32_e32 v30, 2, v74
	v_add3_u32 v74, 0, v29, v30
	v_sub_f32_e32 v29, v16, v18
	v_add_f32_e32 v24, v24, v17
	v_fmamk_f32 v30, v29, 0xbf5db3d7, v35
	v_fmac_f32_e32 v35, 0x3f5db3d7, v29
	v_add_f32_e32 v29, v19, v63
	ds_write_b32 v72, v40 offset:24
	ds_write2_b32 v74, v24, v30 offset1:3
	v_add_f32_e32 v24, v32, v19
	v_fmac_f32_e32 v32, -0.5, v29
	v_perm_b32 v29, v81, v76, s2
	v_pk_mul_lo_u16 v29, v29, 36 op_sel_hi:[1,0]
	v_lshlrev_b32_e32 v30, 2, v78
	v_and_b32_e32 v40, 0xfffc, v29
	v_fmac_f32_e32 v97, v53, v128
	v_fmac_f32_e32 v101, v51, v130
	v_add3_u32 v76, 0, v40, v30
	v_sub_f32_e32 v30, v62, v94
	ds_write_b32 v74, v35 offset:24
	v_add_f32_e32 v24, v24, v63
	v_fmamk_f32 v35, v30, 0xbf5db3d7, v32
	v_fmac_f32_e32 v32, 0x3f5db3d7, v30
	v_add_f32_e32 v30, v97, v101
	ds_write2_b32 v76, v24, v35 offset1:3
	v_add_f32_e32 v24, v31, v97
	v_fmac_f32_e32 v31, -0.5, v30
	v_lshrrev_b32_e32 v29, 16, v29
	v_lshlrev_b32_e32 v30, 2, v82
	v_add3_u32 v35, 0, v29, v30
	v_sub_f32_e32 v29, v98, v102
	v_add_f32_e32 v24, v24, v101
	v_fmamk_f32 v30, v29, 0xbf5db3d7, v31
	v_fmac_f32_e32 v31, 0x3f5db3d7, v29
	v_add_f32_e32 v29, v105, v109
	ds_write_b32 v76, v32 offset:24
	ds_write2_b32 v35, v24, v30 offset1:3
	v_add_f32_e32 v24, v28, v105
	v_fmac_f32_e32 v28, -0.5, v29
	v_perm_b32 v29, v90, v84, s2
	v_pk_mul_lo_u16 v29, v29, 36 op_sel_hi:[1,0]
	ds_write_b32 v35, v31 offset:24
	v_lshlrev_b32_e32 v30, 2, v86
	v_and_b32_e32 v31, 0xfffc, v29
	v_add3_u32 v32, 0, v31, v30
	v_sub_f32_e32 v30, v106, v2
	v_fmac_f32_e32 v110, v47, v136
	v_fmamk_f32 v31, v30, 0xbf5db3d7, v28
	v_fmac_f32_e32 v28, 0x3f5db3d7, v30
	v_add_f32_e32 v24, v24, v109
	v_add_f32_e32 v30, v110, v114
	ds_write_b32 v32, v28 offset:24
	v_lshrrev_b32_e32 v28, 16, v29
	v_lshlrev_b32_e32 v29, 2, v93
	ds_write2_b32 v32, v24, v31 offset1:3
	v_add_f32_e32 v24, v26, v110
	v_fmac_f32_e32 v26, -0.5, v30
	v_add3_u32 v78, 0, v28, v29
	v_sub_f32_e32 v28, v113, v3
	v_add_f32_e32 v24, v24, v114
	v_fmamk_f32 v29, v28, 0xbf5db3d7, v26
	ds_write2_b32 v78, v24, v29 offset1:3
	v_add_f32_e32 v24, v0, v4
	v_add_f32_e32 v4, v4, v6
	v_sub_f32_e32 v5, v89, v5
	v_fma_f32 v0, -0.5, v4, v0
	v_add_f32_e32 v24, v24, v6
	v_fmac_f32_e32 v26, 0x3f5db3d7, v28
	v_fmamk_f32 v4, v5, 0x3f5db3d7, v0
	ds_write_b32 v78, v26 offset:24
	s_waitcnt lgkmcnt(0)
	s_barrier
	ds_read_b32 v89, v120
	v_add_u32_e32 v26, 0x600, v75
	v_add_u32_e32 v128, 0xa00, v75
	ds_read_b32 v90, v119
	ds_read_b32 v93, v115
	;; [unrolled: 1-line block ×3, first 2 shown]
	ds_read2_b32 v[40:41], v75 offset1:108
	ds_read2_b32 v[60:61], v79 offset0:16 offset1:124
	ds_read2_b32 v[56:57], v104 offset0:104 offset1:212
	;; [unrolled: 1-line block ×12, first 2 shown]
	s_waitcnt lgkmcnt(0)
	s_barrier
	ds_write2_b32 v33, v24, v4 offset1:3
	v_fmac_f32_e32 v0, 0xbf5db3d7, v5
	v_add_f32_e32 v4, v68, v69
	ds_write_b32 v33, v0 offset:24
	v_add_f32_e32 v0, v1, v68
	v_fmac_f32_e32 v1, -0.5, v4
	v_sub_f32_e32 v4, v7, v70
	v_fmamk_f32 v5, v4, 0x3f5db3d7, v1
	v_fmac_f32_e32 v1, 0xbf5db3d7, v4
	v_add_f32_e32 v0, v0, v69
	ds_write_b32 v27, v1 offset:24
	v_add_f32_e32 v1, v12, v14
	ds_write2_b32 v27, v0, v5 offset1:3
	v_add_f32_e32 v0, v117, v12
	v_fmac_f32_e32 v117, -0.5, v1
	v_sub_f32_e32 v1, v71, v13
	v_add_f32_e32 v0, v0, v14
	v_fmamk_f32 v4, v1, 0x3f5db3d7, v117
	v_fmac_f32_e32 v117, 0xbf5db3d7, v1
	v_add_f32_e32 v1, v8, v10
	ds_write2_b32 v34, v0, v4 offset1:3
	v_add_f32_e32 v0, v121, v8
	v_fmac_f32_e32 v121, -0.5, v1
	v_sub_f32_e32 v1, v15, v9
	v_add_f32_e32 v0, v0, v10
	v_fmamk_f32 v4, v1, 0x3f5db3d7, v121
	v_fmac_f32_e32 v121, 0xbf5db3d7, v1
	v_add_f32_e32 v1, v20, v22
	ds_write_b32 v34, v117 offset:24
	ds_write2_b32 v25, v0, v4 offset1:3
	v_add_f32_e32 v0, v122, v20
	v_fmac_f32_e32 v122, -0.5, v1
	v_sub_f32_e32 v1, v11, v21
	v_add_f32_e32 v0, v0, v22
	v_fmamk_f32 v4, v1, 0x3f5db3d7, v122
	v_fmac_f32_e32 v122, 0xbf5db3d7, v1
	v_add_f32_e32 v1, v16, v18
	ds_write_b32 v25, v121 offset:24
	;; [unrolled: 9-line block ×6, first 2 shown]
	ds_write2_b32 v32, v0, v2 offset1:3
	v_add_f32_e32 v0, v125, v113
	v_fmac_f32_e32 v125, -0.5, v1
	v_sub_f32_e32 v1, v110, v114
	v_add_f32_e32 v0, v0, v3
	v_fmamk_f32 v2, v1, 0x3f5db3d7, v125
	ds_write_b32 v32, v124 offset:24
	v_fmac_f32_e32 v125, 0xbf5db3d7, v1
	ds_write2_b32 v78, v0, v2 offset1:3
	ds_write_b32 v78, v125 offset:24
	v_mov_b32_e32 v0, 57
	v_mul_lo_u16_sdwa v2, v66, v0 dst_sel:DWORD dst_unused:UNUSED_PAD src0_sel:BYTE_0 src1_sel:DWORD
	v_lshrrev_b16_e32 v81, 9, v2
	v_mul_lo_u16_e32 v2, 9, v81
	v_mov_b32_e32 v1, 9
	v_sub_u16_e32 v82, v66, v2
	v_mul_u32_u24_sdwa v2, v82, v1 dst_sel:DWORD dst_unused:UNUSED_PAD src0_sel:BYTE_0 src1_sel:DWORD
	v_lshlrev_b32_e32 v98, 3, v2
	s_waitcnt lgkmcnt(0)
	s_barrier
	global_load_dwordx4 v[32:35], v98, s[4:5] offset:48
	s_mov_b32 s2, 0xe38f
	v_mul_u32_u24_sdwa v2, v37, s2 dst_sel:DWORD dst_unused:UNUSED_PAD src0_sel:WORD_0 src1_sel:DWORD
	v_lshrrev_b32_e32 v84, 19, v2
	v_mul_lo_u16_e32 v2, 9, v84
	v_sub_u16_e32 v86, v37, v2
	v_mul_u32_u24_e32 v2, 9, v86
	v_lshlrev_b32_e32 v101, 3, v2
	global_load_dwordx4 v[122:125], v101, s[4:5] offset:48
	v_mul_lo_u16_sdwa v0, v36, v0 dst_sel:DWORD dst_unused:UNUSED_PAD src0_sel:BYTE_0 src1_sel:DWORD
	v_lshrrev_b16_e32 v94, 9, v0
	v_mul_lo_u16_e32 v0, 9, v94
	v_sub_u16_e32 v97, v36, v0
	v_mul_u32_u24_sdwa v0, v97, v1 dst_sel:DWORD dst_unused:UNUSED_PAD src0_sel:BYTE_0 src1_sel:DWORD
	v_lshlrev_b32_e32 v70, 3, v0
	global_load_dwordx4 v[8:11], v70, s[4:5] offset:48
	global_load_dwordx4 v[0:3], v70, s[4:5] offset:64
	;; [unrolled: 1-line block ×6, first 2 shown]
	ds_read2_b32 v[68:69], v26 offset0:48 offset1:156
	ds_read2_b32 v[126:127], v128 offset0:116 offset1:224
	global_load_dwordx4 v[24:27], v101, s[4:5] offset:80
	global_load_dwordx2 v[62:63], v70, s[4:5] offset:112
	ds_read_b32 v106, v115
	s_movk_i32 s2, 0x5a
	v_cmp_gt_u32_e32 vcc, s2, v36
	s_movk_i32 s2, 0xb7
	s_waitcnt vmcnt(9) lgkmcnt(2)
	v_mul_f32_e32 v74, v68, v33
	s_waitcnt lgkmcnt(1)
	v_mul_f32_e32 v78, v126, v35
	v_fmac_f32_e32 v74, v30, v32
	v_mul_f32_e32 v30, v30, v33
	v_fmac_f32_e32 v78, v28, v34
	v_mul_f32_e32 v28, v28, v35
	v_fma_f32 v76, v68, v32, -v30
	v_fma_f32 v72, v126, v34, -v28
	global_load_dwordx4 v[32:35], v70, s[4:5] offset:96
	s_waitcnt vmcnt(9)
	v_mul_f32_e32 v68, v69, v123
	v_mul_f32_e32 v28, v31, v123
	v_mul_f32_e32 v71, v127, v125
	v_fmac_f32_e32 v68, v31, v122
	v_fma_f32 v69, v69, v122, -v28
	v_fmac_f32_e32 v71, v29, v124
	v_mul_f32_e32 v70, v29, v125
	global_load_dwordx4 v[28:31], v98, s[4:5] offset:96
	ds_read_b32 v105, v119
	ds_read_b32 v102, v120
	;; [unrolled: 1-line block ×3, first 2 shown]
	global_load_dwordx4 v[120:123], v101, s[4:5] offset:96
	s_waitcnt vmcnt(10) lgkmcnt(3)
	v_mul_f32_e32 v110, v106, v9
	v_mul_f32_e32 v9, v93, v9
	v_fmac_f32_e32 v110, v93, v8
	v_fma_f32 v93, v106, v8, -v9
	s_waitcnt lgkmcnt(2)
	v_mul_f32_e32 v106, v105, v11
	v_mul_f32_e32 v8, v90, v11
	v_fmac_f32_e32 v106, v90, v10
	v_fma_f32 v90, v105, v10, -v8
	s_waitcnt vmcnt(9) lgkmcnt(1)
	v_mul_f32_e32 v105, v102, v1
	v_mul_f32_e32 v1, v89, v1
	v_fmac_f32_e32 v105, v89, v0
	v_fma_f32 v89, v102, v0, -v1
	global_load_dwordx2 v[0:1], v98, s[4:5] offset:112
	global_load_dwordx2 v[10:11], v101, s[4:5] offset:112
	ds_read2_b32 v[8:9], v79 offset0:16 offset1:124
	v_fma_f32 v70, v127, v124, -v70
	s_waitcnt lgkmcnt(0)
	v_mul_f32_e32 v102, v8, v3
	v_mul_f32_e32 v3, v60, v3
	v_fmac_f32_e32 v102, v60, v2
	v_fma_f32 v60, v8, v2, -v3
	ds_read2_b32 v[2:3], v77 offset0:56 offset1:164
	s_waitcnt vmcnt(10)
	v_mul_f32_e32 v98, v9, v7
	v_fmac_f32_e32 v98, v61, v6
	v_mul_f32_e32 v7, v61, v7
	v_fma_f32 v6, v9, v6, -v7
	s_waitcnt lgkmcnt(0)
	v_mul_f32_e32 v61, v2, v5
	v_mul_f32_e32 v5, v58, v5
	v_fmac_f32_e32 v61, v58, v4
	v_fma_f32 v58, v2, v4, -v5
	ds_read2_b32 v[4:5], v104 offset0:104 offset1:212
	ds_read2_b32 v[8:9], v111 offset0:24 offset1:132
	s_waitcnt vmcnt(9)
	v_mul_f32_e32 v101, v3, v13
	v_mul_f32_e32 v2, v59, v13
	v_fmac_f32_e32 v101, v59, v12
	v_fma_f32 v59, v3, v12, -v2
	s_waitcnt lgkmcnt(1)
	v_mul_f32_e32 v3, v4, v15
	v_mul_f32_e32 v2, v56, v15
	v_fmac_f32_e32 v3, v56, v14
	v_fma_f32 v2, v4, v14, -v2
	s_waitcnt vmcnt(8)
	v_mul_f32_e32 v14, v5, v17
	v_mul_f32_e32 v4, v57, v17
	v_fmac_f32_e32 v14, v57, v16
	v_fma_f32 v15, v5, v16, -v4
	s_waitcnt lgkmcnt(0)
	v_mul_f32_e32 v16, v8, v19
	v_mul_f32_e32 v4, v54, v19
	v_fmac_f32_e32 v16, v54, v18
	v_fma_f32 v54, v8, v18, -v4
	ds_read2_b32 v[4:5], v96 offset0:64 offset1:172
	s_waitcnt vmcnt(7)
	v_mul_f32_e32 v56, v9, v23
	v_mul_f32_e32 v7, v55, v23
	v_fmac_f32_e32 v56, v55, v22
	v_fma_f32 v55, v9, v22, -v7
	ds_read2_b32 v[8:9], v91 offset0:112 offset1:220
	ds_read2_b32 v[12:13], v107 offset0:32 offset1:140
	s_waitcnt lgkmcnt(2)
	v_mul_f32_e32 v17, v4, v21
	v_mul_f32_e32 v7, v52, v21
	v_fmac_f32_e32 v17, v52, v20
	v_fma_f32 v52, v4, v20, -v7
	s_waitcnt vmcnt(6)
	v_mul_f32_e32 v4, v53, v25
	v_mul_f32_e32 v18, v5, v25
	v_fma_f32 v5, v5, v24, -v4
	v_mul_f32_e32 v4, v50, v27
	s_waitcnt lgkmcnt(1)
	v_mul_f32_e32 v7, v8, v27
	v_fma_f32 v4, v8, v26, -v4
	v_fmac_f32_e32 v7, v50, v26
	v_fmac_f32_e32 v18, v53, v24
	s_waitcnt vmcnt(4)
	v_mul_f32_e32 v8, v51, v33
	v_fma_f32 v20, v9, v32, -v8
	s_waitcnt lgkmcnt(0)
	v_mul_f32_e32 v21, v12, v35
	v_mul_f32_e32 v8, v48, v35
	;; [unrolled: 1-line block ×3, first 2 shown]
	v_fmac_f32_e32 v21, v48, v34
	v_fma_f32 v48, v12, v34, -v8
	ds_read2_b32 v[8:9], v92 offset0:72 offset1:180
	s_waitcnt vmcnt(3)
	v_mul_f32_e32 v50, v13, v31
	v_mul_f32_e32 v12, v49, v31
	v_fmac_f32_e32 v50, v49, v30
	v_fma_f32 v49, v13, v30, -v12
	s_waitcnt lgkmcnt(0)
	v_mul_f32_e32 v22, v8, v29
	v_mul_f32_e32 v12, v46, v29
	v_fmac_f32_e32 v22, v46, v28
	v_fma_f32 v46, v8, v28, -v12
	ds_read2_b32 v[12:13], v99 offset0:120 offset1:228
	s_waitcnt vmcnt(2)
	v_mul_f32_e32 v23, v9, v121
	v_mul_f32_e32 v8, v47, v121
	v_fmac_f32_e32 v23, v47, v120
	v_fma_f32 v47, v9, v120, -v8
	v_mul_f32_e32 v8, v44, v123
	s_waitcnt lgkmcnt(0)
	v_fma_f32 v53, v12, v122, -v8
	ds_read2_b32 v[8:9], v112 offset0:80 offset1:188
	v_mul_f32_e32 v24, v45, v63
	v_fmac_f32_e32 v19, v51, v32
	v_mul_f32_e32 v51, v12, v123
	v_mul_f32_e32 v12, v13, v63
	v_fma_f32 v13, v13, v62, -v24
	s_waitcnt vmcnt(1) lgkmcnt(0)
	v_mul_f32_e32 v24, v8, v1
	v_mul_f32_e32 v1, v42, v1
	v_fmac_f32_e32 v24, v42, v0
	v_fma_f32 v8, v8, v0, -v1
	s_waitcnt vmcnt(0)
	v_mul_f32_e32 v0, v43, v11
	v_mul_f32_e32 v25, v9, v11
	v_fma_f32 v9, v9, v10, -v0
	v_add_f32_e32 v0, v98, v56
	v_fmac_f32_e32 v25, v43, v10
	v_fma_f32 v10, -0.5, v0, v41
	v_add_f32_e32 v0, v78, v50
	v_add_f32_e32 v11, v41, v78
	v_fmac_f32_e32 v41, -0.5, v0
	v_sub_f32_e32 v0, v98, v78
	v_sub_f32_e32 v1, v56, v50
	v_add_f32_e32 v26, v0, v1
	v_add_f32_e32 v0, v17, v22
	v_fmac_f32_e32 v12, v45, v62
	v_fma_f32 v62, -0.5, v0, v74
	v_add_f32_e32 v0, v61, v24
	v_add_f32_e32 v27, v74, v61
	v_fmac_f32_e32 v74, -0.5, v0
	v_sub_f32_e32 v0, v17, v61
	v_sub_f32_e32 v1, v22, v24
	v_add_f32_e32 v28, v0, v1
	v_add_f32_e32 v0, v52, v46
	v_fma_f32 v63, -0.5, v0, v76
	v_add_f32_e32 v0, v58, v8
	v_add_f32_e32 v113, v76, v58
	v_fmac_f32_e32 v76, -0.5, v0
	v_sub_f32_e32 v43, v17, v22
	v_fmac_f32_e32 v51, v44, v122
	v_sub_f32_e32 v0, v52, v58
	v_sub_f32_e32 v1, v46, v8
	;; [unrolled: 1-line block ×3, first 2 shown]
	v_fmamk_f32 v117, v43, 0xbf737871, v76
	v_fmac_f32_e32 v76, 0x3f737871, v43
	v_sub_f32_e32 v44, v61, v24
	v_add_f32_e32 v29, v0, v1
	v_add_f32_e32 v0, v102, v16
	v_sub_f32_e32 v32, v6, v55
	v_fmamk_f32 v114, v35, 0x3f737871, v74
	v_fmac_f32_e32 v74, 0xbf737871, v35
	v_sub_f32_e32 v42, v58, v8
	v_fmac_f32_e32 v76, 0xbf167918, v44
	v_fma_f32 v30, -0.5, v0, v40
	v_add_f32_e32 v0, v106, v21
	v_fmamk_f32 v33, v32, 0x3f737871, v41
	v_fmac_f32_e32 v41, 0xbf737871, v32
	v_sub_f32_e32 v34, v72, v49
	v_fmac_f32_e32 v74, 0x3f167918, v42
	v_fmac_f32_e32 v76, 0x3e9e377a, v29
	v_fma_f32 v31, -0.5, v0, v40
	v_fmac_f32_e32 v41, 0x3f167918, v34
	v_fmac_f32_e32 v74, 0x3e9e377a, v28
	v_mul_f32_e32 v0, 0xbf737871, v76
	v_fmac_f32_e32 v41, 0x3e9e377a, v26
	v_fmac_f32_e32 v0, 0xbe9e377a, v74
	v_add_f32_e32 v45, v41, v0
	v_sub_f32_e32 v41, v41, v0
	v_add_f32_e32 v0, v40, v106
	v_sub_f32_e32 v1, v106, v102
	v_sub_f32_e32 v40, v21, v16
	v_add_f32_e32 v40, v1, v40
	v_sub_f32_e32 v1, v105, v14
	v_sub_f32_e32 v57, v12, v19
	v_add_f32_e32 v0, v0, v102
	v_add_f32_e32 v57, v1, v57
	v_sub_f32_e32 v1, v89, v15
	v_sub_f32_e32 v119, v13, v20
	v_add_f32_e32 v0, v0, v16
	v_add_f32_e32 v119, v1, v119
	v_mul_u32_u24_e32 v1, 0x168, v94
	v_lshlrev_b32_sdwa v94, v64, v97 dst_sel:DWORD dst_unused:UNUSED_PAD src0_sel:DWORD src1_sel:BYTE_0
	v_add_f32_e32 v97, v0, v21
	v_add_f32_e32 v0, v110, v105
	;; [unrolled: 1-line block ×6, first 2 shown]
	v_fma_f32 v124, -0.5, v0, v110
	v_add_f32_e32 v0, v15, v20
	v_fma_f32 v128, -0.5, v0, v93
	v_sub_f32_e32 v129, v105, v12
	v_sub_f32_e32 v125, v89, v13
	v_fmamk_f32 v130, v129, 0x3f737871, v128
	v_sub_f32_e32 v131, v14, v19
	v_sub_f32_e32 v120, v90, v48
	v_fmamk_f32 v126, v125, 0xbf737871, v124
	v_sub_f32_e32 v127, v15, v20
	v_fmac_f32_e32 v130, 0x3f167918, v131
	v_fmamk_f32 v121, v120, 0xbf737871, v30
	v_sub_f32_e32 v122, v60, v54
	v_fmac_f32_e32 v126, 0xbf167918, v127
	v_fmac_f32_e32 v130, 0x3e9e377a, v119
	;; [unrolled: 1-line block ×4, first 2 shown]
	v_mul_f32_e32 v132, 0xbf167918, v130
	v_fmac_f32_e32 v121, 0x3e9e377a, v40
	v_fmac_f32_e32 v132, 0x3f4f1bbd, v126
	v_add3_u32 v94, 0, v1, v94
	v_add_f32_e32 v133, v97, v123
	v_add_f32_e32 v134, v121, v132
	ds_read2_b32 v[0:1], v75 offset1:108
	s_waitcnt lgkmcnt(0)
	s_barrier
	ds_write2_b32 v94, v133, v134 offset1:9
	v_sub_f32_e32 v133, v102, v106
	v_sub_f32_e32 v134, v16, v21
	v_add_f32_e32 v133, v133, v134
	v_fmamk_f32 v134, v122, 0x3f737871, v31
	v_fmac_f32_e32 v31, 0xbf737871, v122
	v_fmac_f32_e32 v134, 0xbf167918, v120
	;; [unrolled: 1-line block ×5, first 2 shown]
	v_add_f32_e32 v133, v105, v12
	v_fmac_f32_e32 v110, -0.5, v133
	v_sub_f32_e32 v14, v14, v105
	v_sub_f32_e32 v12, v19, v12
	v_fmamk_f32 v105, v127, 0x3f737871, v110
	v_fmac_f32_e32 v110, 0xbf737871, v127
	v_add_f32_e32 v12, v14, v12
	v_fmac_f32_e32 v105, 0xbf167918, v125
	v_fmac_f32_e32 v110, 0x3f167918, v125
	v_add_f32_e32 v14, v89, v13
	v_fmac_f32_e32 v105, 0x3e9e377a, v12
	v_fmac_f32_e32 v110, 0x3e9e377a, v12
	v_add_f32_e32 v12, v93, v89
	v_fmac_f32_e32 v93, -0.5, v14
	v_fmac_f32_e32 v128, 0xbf737871, v129
	v_sub_f32_e32 v14, v15, v89
	v_sub_f32_e32 v19, v20, v13
	v_fmamk_f32 v89, v131, 0xbf737871, v93
	v_fmac_f32_e32 v124, 0x3f737871, v125
	v_fmac_f32_e32 v128, 0xbf167918, v131
	v_add_f32_e32 v14, v14, v19
	v_fmac_f32_e32 v89, 0x3f167918, v129
	v_fmac_f32_e32 v93, 0x3f737871, v131
	;; [unrolled: 1-line block ×9, first 2 shown]
	v_mul_f32_e32 v57, 0xbf167918, v128
	v_fmac_f32_e32 v93, 0x3e9e377a, v14
	v_mul_f32_e32 v14, 0xbf737871, v89
	v_fmac_f32_e32 v30, 0x3e9e377a, v40
	v_fmac_f32_e32 v57, 0xbf4f1bbd, v124
	;; [unrolled: 1-line block ×3, first 2 shown]
	v_mul_f32_e32 v19, 0xbf737871, v93
	v_sub_f32_e32 v40, v97, v123
	v_add_f32_e32 v97, v30, v57
	v_fmac_f32_e32 v19, 0xbe9e377a, v110
	v_add_f32_e32 v133, v134, v14
	ds_write2_b32 v94, v97, v40 offset0:36 offset1:45
	v_sub_f32_e32 v40, v121, v132
	v_sub_f32_e32 v14, v134, v14
	v_add_f32_e32 v135, v31, v19
	ds_write2_b32 v94, v40, v14 offset0:54 offset1:63
	v_sub_f32_e32 v14, v31, v19
	v_sub_f32_e32 v19, v30, v57
	ds_write2_b32 v94, v14, v19 offset0:72 offset1:81
	v_sub_f32_e32 v14, v78, v98
	v_sub_f32_e32 v19, v50, v56
	v_add_f32_e32 v14, v14, v19
	v_add_f32_e32 v19, v27, v17
	v_sub_f32_e32 v17, v61, v17
	v_add_f32_e32 v19, v19, v22
	v_sub_f32_e32 v22, v24, v22
	v_add_f32_e32 v19, v19, v24
	v_add_f32_e32 v17, v17, v22
	v_sub_f32_e32 v22, v58, v52
	v_sub_f32_e32 v24, v8, v46
	v_add_f32_e32 v22, v22, v24
	v_mul_u32_u24_e32 v24, 0x168, v81
	v_lshlrev_b32_sdwa v27, v64, v82 dst_sel:DWORD dst_unused:UNUSED_PAD src0_sel:DWORD src1_sel:BYTE_0
	v_fmamk_f32 v61, v44, 0x3f737871, v63
	v_fmac_f32_e32 v63, 0xbf737871, v44
	v_add3_u32 v40, 0, v24, v27
	v_fmamk_f32 v24, v34, 0xbf737871, v10
	v_fmamk_f32 v58, v42, 0xbf737871, v62
	v_fmac_f32_e32 v10, 0x3f737871, v34
	v_fmac_f32_e32 v62, 0x3f737871, v42
	v_fmac_f32_e32 v63, 0xbf167918, v43
	v_add_f32_e32 v11, v11, v98
	v_fmac_f32_e32 v24, 0xbf167918, v32
	v_fmac_f32_e32 v61, 0x3f167918, v43
	;; [unrolled: 1-line block ×6, first 2 shown]
	v_add_f32_e32 v11, v11, v56
	v_fmac_f32_e32 v24, 0x3e9e377a, v14
	v_fmac_f32_e32 v58, 0xbf167918, v35
	;; [unrolled: 1-line block ×8, first 2 shown]
	v_mul_f32_e32 v14, 0xbf167918, v63
	v_add_f32_e32 v11, v11, v50
	v_fmac_f32_e32 v58, 0x3e9e377a, v17
	v_mul_f32_e32 v27, 0xbf167918, v61
	v_fmac_f32_e32 v33, 0x3e9e377a, v26
	v_fmac_f32_e32 v114, 0x3e9e377a, v28
	v_mul_f32_e32 v26, 0xbf737871, v117
	v_fmac_f32_e32 v14, 0xbf4f1bbd, v62
	v_fmac_f32_e32 v27, 0x3f4f1bbd, v58
	v_add_f32_e32 v30, v11, v19
	v_fmac_f32_e32 v26, 0x3e9e377a, v114
	v_sub_f32_e32 v11, v11, v19
	v_add_f32_e32 v17, v10, v14
	ds_write2_b32 v94, v133, v135 offset0:18 offset1:27
	ds_write2_b32 v40, v17, v11 offset0:36 offset1:45
	v_sub_f32_e32 v11, v24, v27
	v_sub_f32_e32 v17, v33, v26
	;; [unrolled: 1-line block ×3, first 2 shown]
	ds_write2_b32 v40, v11, v17 offset0:54 offset1:63
	ds_write2_b32 v40, v41, v10 offset0:72 offset1:81
	v_sub_f32_e32 v10, v71, v3
	v_sub_f32_e32 v11, v51, v7
	v_add_f32_e32 v31, v24, v27
	v_add_f32_e32 v10, v10, v11
	v_sub_f32_e32 v11, v101, v18
	v_sub_f32_e32 v14, v25, v23
	ds_write2_b32 v40, v30, v31 offset1:9
	v_add_f32_e32 v28, v33, v26
	v_add_f32_e32 v11, v11, v14
	v_sub_f32_e32 v14, v59, v5
	v_sub_f32_e32 v17, v9, v47
	v_add_f32_e32 v30, v5, v47
	ds_write2_b32 v40, v28, v45 offset0:18 offset1:27
	v_add_f32_e32 v14, v14, v17
	v_mul_u32_u24_e32 v17, 0x168, v84
	v_lshlrev_b32_e32 v19, 2, v86
	v_add_f32_e32 v28, v18, v23
	v_fma_f32 v84, -0.5, v30, v69
	v_sub_f32_e32 v30, v101, v25
	v_add3_u32 v41, 0, v17, v19
	v_add_f32_e32 v19, v3, v7
	v_fma_f32 v81, -0.5, v28, v68
	v_sub_f32_e32 v28, v59, v9
	v_fmamk_f32 v86, v30, 0x3f737871, v84
	v_sub_f32_e32 v31, v18, v23
	v_add_f32_e32 v17, v65, v71
	v_fma_f32 v19, -0.5, v19, v65
	v_sub_f32_e32 v22, v70, v53
	v_add_f32_e32 v27, v68, v101
	v_fmamk_f32 v82, v28, 0xbf737871, v81
	v_sub_f32_e32 v29, v5, v47
	v_fmac_f32_e32 v86, 0x3f167918, v31
	v_add_f32_e32 v17, v17, v3
	v_fmamk_f32 v24, v22, 0xbf737871, v19
	v_sub_f32_e32 v26, v2, v4
	v_add_f32_e32 v27, v27, v18
	v_fmac_f32_e32 v82, 0xbf167918, v29
	v_fmac_f32_e32 v86, 0x3e9e377a, v14
	v_add_f32_e32 v17, v17, v7
	v_fmac_f32_e32 v24, 0xbf167918, v26
	v_add_f32_e32 v27, v27, v23
	v_fmac_f32_e32 v82, 0x3e9e377a, v11
	v_mul_f32_e32 v32, 0xbf167918, v86
	v_add_f32_e32 v17, v17, v51
	v_fmac_f32_e32 v24, 0x3e9e377a, v10
	v_add_f32_e32 v27, v27, v25
	v_fmac_f32_e32 v32, 0x3f4f1bbd, v82
	v_add_f32_e32 v33, v17, v27
	v_add_f32_e32 v34, v24, v32
	ds_write2_b32 v41, v33, v34 offset1:9
	v_add_f32_e32 v33, v71, v51
	v_fmac_f32_e32 v65, -0.5, v33
	v_sub_f32_e32 v33, v3, v71
	v_sub_f32_e32 v34, v7, v51
	v_add_f32_e32 v33, v33, v34
	v_fmamk_f32 v34, v26, 0x3f737871, v65
	v_fmac_f32_e32 v65, 0xbf737871, v26
	v_fmac_f32_e32 v34, 0xbf167918, v22
	;; [unrolled: 1-line block ×5, first 2 shown]
	v_add_f32_e32 v33, v101, v25
	v_fmac_f32_e32 v68, -0.5, v33
	v_sub_f32_e32 v18, v18, v101
	v_sub_f32_e32 v23, v23, v25
	v_fmamk_f32 v97, v29, 0x3f737871, v68
	v_fmac_f32_e32 v68, 0xbf737871, v29
	v_add_f32_e32 v18, v18, v23
	v_fmac_f32_e32 v97, 0xbf167918, v28
	v_fmac_f32_e32 v68, 0x3f167918, v28
	;; [unrolled: 1-line block ×4, first 2 shown]
	v_add_f32_e32 v18, v59, v9
	v_add_f32_e32 v101, v69, v59
	v_fmac_f32_e32 v69, -0.5, v18
	v_fmac_f32_e32 v84, 0xbf737871, v30
	v_sub_f32_e32 v18, v5, v59
	v_sub_f32_e32 v23, v47, v9
	v_fmamk_f32 v59, v31, 0xbf737871, v69
	v_fmac_f32_e32 v81, 0x3f737871, v28
	v_fmac_f32_e32 v84, 0xbf167918, v31
	v_add_f32_e32 v18, v18, v23
	v_fmac_f32_e32 v59, 0x3f167918, v30
	v_fmac_f32_e32 v69, 0x3f737871, v31
	;; [unrolled: 1-line block ×9, first 2 shown]
	v_mul_f32_e32 v11, 0xbf167918, v84
	v_fmac_f32_e32 v69, 0x3e9e377a, v18
	v_mul_f32_e32 v18, 0xbf737871, v59
	v_fmac_f32_e32 v19, 0x3e9e377a, v10
	v_fmac_f32_e32 v11, 0xbf4f1bbd, v81
	;; [unrolled: 1-line block ×3, first 2 shown]
	v_mul_f32_e32 v23, 0xbf737871, v69
	v_sub_f32_e32 v10, v17, v27
	v_add_f32_e32 v14, v19, v11
	v_fmac_f32_e32 v23, 0xbe9e377a, v68
	ds_write2_b32 v41, v14, v10 offset0:36 offset1:45
	v_sub_f32_e32 v10, v24, v32
	v_sub_f32_e32 v14, v34, v18
	ds_write2_b32 v41, v10, v14 offset0:54 offset1:63
	v_sub_f32_e32 v10, v65, v23
	v_sub_f32_e32 v11, v19, v11
	;; [unrolled: 3-line block ×3, first 2 shown]
	v_add_f32_e32 v33, v65, v23
	v_sub_f32_e32 v65, v106, v21
	v_add_f32_e32 v106, v10, v11
	v_add_f32_e32 v10, v12, v15
	;; [unrolled: 1-line block ×9, first 2 shown]
	v_sub_f32_e32 v60, v60, v90
	v_add_f32_e32 v90, v90, v48
	v_sub_f32_e32 v102, v102, v16
	v_fma_f32 v122, -0.5, v10, v0
	v_fma_f32 v0, -0.5, v90, v0
	v_sub_f32_e32 v48, v54, v48
	v_fmamk_f32 v54, v102, 0xbf737871, v0
	v_fmac_f32_e32 v0, 0x3f737871, v102
	v_add_f32_e32 v48, v60, v48
	v_fmac_f32_e32 v54, 0x3f167918, v65
	v_fmac_f32_e32 v0, 0xbf167918, v65
	v_fmamk_f32 v123, v65, 0x3f737871, v122
	v_fmac_f32_e32 v54, 0x3e9e377a, v48
	v_fmac_f32_e32 v0, 0x3e9e377a, v48
	v_mul_f32_e32 v48, 0x3e9e377a, v89
	v_mul_f32_e32 v60, 0xbe9e377a, v93
	v_fmac_f32_e32 v122, 0xbf737871, v65
	v_fmac_f32_e32 v48, 0x3f737871, v105
	v_fmac_f32_e32 v60, 0x3f737871, v110
	v_fmac_f32_e32 v122, 0xbf167918, v102
	v_mul_f32_e32 v65, 0xbf4f1bbd, v128
	v_add_f32_e32 v25, v34, v18
	v_mul_f32_e32 v120, 0x3f4f1bbd, v130
	v_fmac_f32_e32 v123, 0x3f167918, v102
	v_add_f32_e32 v89, v54, v48
	v_add_f32_e32 v90, v0, v60
	v_fmac_f32_e32 v122, 0x3e9e377a, v106
	v_fmac_f32_e32 v65, 0x3f167918, v124
	ds_write2_b32 v41, v25, v33 offset0:18 offset1:27
	v_fmac_f32_e32 v120, 0x3f167918, v126
	v_fmac_f32_e32 v123, 0x3e9e377a, v106
	s_waitcnt lgkmcnt(0)
	s_barrier
	v_add_u32_e32 v57, 0x800, v75
	ds_read_b32 v45, v116
	ds_read_b32 v43, v115
	v_add_u32_e32 v44, 0xc00, v75
	ds_read_b32 v148, v118
	ds_read_b32 v42, v73
	ds_read2_b32 v[10:11], v75 offset1:108
	ds_read2_b32 v[34:35], v77 offset0:56 offset1:164
	ds_read2_b32 v[26:27], v104 offset0:104 offset1:212
	;; [unrolled: 1-line block ×12, first 2 shown]
	s_waitcnt lgkmcnt(0)
	s_barrier
	ds_write2_b32 v94, v89, v90 offset0:18 offset1:27
	v_sub_f32_e32 v89, v121, v119
	v_add_f32_e32 v90, v122, v65
	ds_write2_b32 v94, v90, v89 offset0:36 offset1:45
	v_sub_f32_e32 v89, v123, v120
	v_sub_f32_e32 v48, v54, v48
	v_add_f32_e32 v54, v1, v72
	ds_write2_b32 v94, v89, v48 offset0:54 offset1:63
	v_sub_f32_e32 v0, v0, v60
	;; [unrolled: 4-line block ×3, first 2 shown]
	v_sub_f32_e32 v48, v98, v56
	v_add_f32_e32 v50, v6, v55
	v_add_f32_e32 v56, v72, v49
	v_add_f32_e32 v54, v54, v55
	v_fma_f32 v50, -0.5, v50, v1
	v_fmac_f32_e32 v1, -0.5, v56
	v_sub_f32_e32 v56, v6, v72
	v_sub_f32_e32 v60, v55, v49
	;; [unrolled: 1-line block ×3, first 2 shown]
	v_add_f32_e32 v54, v54, v49
	v_sub_f32_e32 v49, v49, v55
	v_add_f32_e32 v6, v6, v49
	v_add_f32_e32 v49, v113, v52
	;; [unrolled: 1-line block ×3, first 2 shown]
	v_fmamk_f32 v49, v0, 0x3f737871, v50
	v_add_f32_e32 v8, v46, v8
	v_mul_f32_e32 v46, 0x3f4f1bbd, v61
	v_fmac_f32_e32 v49, 0x3f167918, v48
	v_fmamk_f32 v65, v48, 0xbf737871, v1
	v_fmac_f32_e32 v1, 0x3f737871, v48
	v_fmac_f32_e32 v46, 0x3f167918, v58
	;; [unrolled: 1-line block ×4, first 2 shown]
	v_add_f32_e32 v125, v121, v119
	v_add_f32_e32 v126, v123, v120
	v_fmac_f32_e32 v1, 0xbf167918, v0
	v_add_f32_e32 v52, v54, v8
	v_add_f32_e32 v55, v49, v46
	v_fmac_f32_e32 v65, 0x3f167918, v0
	v_fmac_f32_e32 v50, 0xbf167918, v48
	v_mul_f32_e32 v0, 0xbf4f1bbd, v63
	ds_write2_b32 v94, v125, v126 offset1:9
	v_add_f32_e32 v56, v56, v60
	ds_write2_b32 v40, v52, v55 offset1:9
	v_mul_f32_e32 v52, 0x3e9e377a, v117
	v_fmac_f32_e32 v50, 0x3e9e377a, v6
	v_fmac_f32_e32 v0, 0x3f167918, v62
	v_mul_f32_e32 v60, 0xbe9e377a, v76
	v_fmac_f32_e32 v65, 0x3e9e377a, v56
	v_fmac_f32_e32 v52, 0x3f737871, v114
	v_sub_f32_e32 v6, v54, v8
	v_add_f32_e32 v8, v50, v0
	v_fmac_f32_e32 v60, 0x3f737871, v74
	v_fmac_f32_e32 v1, 0x3e9e377a, v56
	ds_write2_b32 v40, v8, v6 offset0:36 offset1:45
	v_sub_f32_e32 v6, v49, v46
	v_sub_f32_e32 v8, v65, v52
	v_add_f32_e32 v74, v1, v60
	v_sub_f32_e32 v1, v1, v60
	ds_write2_b32 v40, v6, v8 offset0:54 offset1:63
	v_sub_f32_e32 v0, v50, v0
	v_add_f32_e32 v5, v101, v5
	v_add_f32_e32 v8, v2, v4
	ds_write2_b32 v40, v1, v0 offset0:72 offset1:81
	v_sub_f32_e32 v0, v71, v51
	v_sub_f32_e32 v1, v3, v7
	v_add_f32_e32 v5, v5, v47
	v_add_f32_e32 v7, v109, v70
	v_fma_f32 v8, -0.5, v8, v109
	v_sub_f32_e32 v3, v70, v2
	v_sub_f32_e32 v6, v53, v4
	v_add_f32_e32 v5, v5, v9
	v_add_f32_e32 v7, v7, v2
	v_fmamk_f32 v9, v0, 0x3f737871, v8
	v_add_f32_e32 v3, v3, v6
	v_mul_f32_e32 v6, 0x3f4f1bbd, v86
	v_add_f32_e32 v7, v7, v4
	v_fmac_f32_e32 v9, 0x3f167918, v1
	v_add_f32_e32 v55, v65, v52
	v_fmac_f32_e32 v6, 0x3f167918, v82
	;; [unrolled: 2-line block ×3, first 2 shown]
	ds_write2_b32 v40, v55, v74 offset0:18 offset1:27
	v_add_f32_e32 v40, v7, v5
	v_add_f32_e32 v46, v9, v6
	ds_write2_b32 v41, v40, v46 offset1:9
	v_add_f32_e32 v40, v70, v53
	v_fmac_f32_e32 v109, -0.5, v40
	v_sub_f32_e32 v2, v2, v70
	v_sub_f32_e32 v4, v4, v53
	v_add_f32_e32 v2, v2, v4
	v_fmamk_f32 v4, v1, 0xbf737871, v109
	v_fmac_f32_e32 v109, 0x3f737871, v1
	v_fmac_f32_e32 v8, 0xbf737871, v0
	;; [unrolled: 1-line block ×5, first 2 shown]
	v_mul_f32_e32 v0, 0xbf4f1bbd, v84
	v_fmac_f32_e32 v4, 0x3e9e377a, v2
	v_fmac_f32_e32 v109, 0x3e9e377a, v2
	v_mul_f32_e32 v2, 0x3e9e377a, v59
	v_mul_f32_e32 v40, 0xbe9e377a, v69
	v_fmac_f32_e32 v8, 0x3e9e377a, v3
	v_fmac_f32_e32 v0, 0x3f167918, v81
	;; [unrolled: 1-line block ×4, first 2 shown]
	v_sub_f32_e32 v1, v7, v5
	v_add_f32_e32 v3, v8, v0
	v_add_f32_e32 v46, v4, v2
	;; [unrolled: 1-line block ×3, first 2 shown]
	ds_write2_b32 v41, v3, v1 offset0:36 offset1:45
	v_sub_f32_e32 v1, v9, v6
	v_sub_f32_e32 v2, v4, v2
	;; [unrolled: 1-line block ×3, first 2 shown]
	ds_write2_b32 v41, v46, v47 offset0:18 offset1:27
	v_sub_f32_e32 v3, v109, v40
	ds_write2_b32 v41, v1, v2 offset0:54 offset1:63
	ds_write2_b32 v41, v3, v0 offset0:72 offset1:81
	v_add_u32_e32 v0, 0xffffffa6, v36
	v_cndmask_b32_e32 v46, v0, v36, vcc
	v_mul_i32_i24_e32 v8, 5, v46
	v_mov_b32_e32 v9, 0
	v_lshl_add_u64 v[40:41], v[8:9], 3, s[4:5]
	s_waitcnt lgkmcnt(0)
	s_barrier
	global_load_dwordx4 v[0:3], v[40:41], off offset:696
	v_mul_lo_u16_sdwa v4, v66, s2 dst_sel:DWORD dst_unused:UNUSED_PAD src0_sel:BYTE_0 src1_sel:DWORD
	v_lshrrev_b16_e32 v47, 14, v4
	v_mul_lo_u16_e32 v4, 0x5a, v47
	v_sub_u16_e32 v48, v66, v4
	v_mov_b32_e32 v4, 5
	v_mul_u32_u24_sdwa v4, v48, v4 dst_sel:DWORD dst_unused:UNUSED_PAD src0_sel:BYTE_0 src1_sel:DWORD
	v_lshlrev_b32_e32 v55, 3, v4
	s_movk_i32 s2, 0x2d83
	global_load_dwordx4 v[4:7], v55, s[4:5] offset:696
	v_mul_u32_u24_sdwa v8, v37, s2 dst_sel:DWORD dst_unused:UNUSED_PAD src0_sel:WORD_0 src1_sel:DWORD
	v_lshrrev_b32_e32 v53, 20, v8
	v_mul_lo_u16_e32 v8, 0x5a, v53
	v_sub_u16_e32 v54, v37, v8
	v_mul_u32_u24_e32 v8, 5, v54
	v_lshlrev_b32_e32 v56, 3, v8
	global_load_dwordx4 v[120:123], v56, s[4:5] offset:696
	v_mul_u32_u24_sdwa v8, v67, s2 dst_sel:DWORD dst_unused:UNUSED_PAD src0_sel:WORD_0 src1_sel:DWORD
	v_lshrrev_b32_e32 v49, 20, v8
	v_mul_lo_u16_e32 v8, 0x5a, v49
	v_sub_u16_e32 v50, v67, v8
	v_mul_u32_u24_e32 v8, 5, v50
	v_lshlrev_b32_e32 v65, 3, v8
	v_mul_u32_u24_sdwa v8, v83, s2 dst_sel:DWORD dst_unused:UNUSED_PAD src0_sel:WORD_0 src1_sel:DWORD
	global_load_dwordx4 v[124:127], v65, s[4:5] offset:696
	v_lshrrev_b32_e32 v51, 20, v8
	v_mul_lo_u16_e32 v8, 0x5a, v51
	v_sub_u16_e32 v52, v83, v8
	v_mul_u32_u24_e32 v8, 5, v52
	v_lshlrev_b32_e32 v71, 3, v8
	global_load_dwordx4 v[128:131], v71, s[4:5] offset:696
	global_load_dwordx4 v[132:135], v[40:41], off offset:712
	global_load_dwordx4 v[136:139], v55, s[4:5] offset:712
	global_load_dwordx4 v[140:143], v56, s[4:5] offset:712
	ds_read_b32 v60, v118
	ds_read2_b32 v[58:59], v77 offset0:56 offset1:164
	global_load_dwordx4 v[144:147], v65, s[4:5] offset:712
	ds_read2_b32 v[152:153], v57 offset0:136 offset1:244
	global_load_dwordx2 v[40:41], v[40:41], off offset:728
	s_movk_i32 s2, 0x59
	v_cmp_lt_u32_e32 vcc, s2, v36
	v_lshlrev_b32_e32 v46, 2, v46
	ds_read_b32 v8, v73
	s_mov_b32 s2, 0x3f5db3d7
	s_waitcnt vmcnt(9) lgkmcnt(3)
	v_mul_f32_e32 v68, v60, v1
	v_fmac_f32_e32 v68, v148, v0
	v_mul_f32_e32 v1, v148, v1
	global_load_dwordx4 v[148:151], v71, s[4:5] offset:712
	v_fma_f32 v69, v60, v0, -v1
	s_waitcnt lgkmcnt(2)
	v_mul_f32_e32 v0, v58, v3
	v_mul_f32_e32 v1, v34, v3
	v_fmac_f32_e32 v0, v34, v2
	v_fma_f32 v2, v58, v2, -v1
	s_waitcnt vmcnt(9)
	v_mul_f32_e32 v63, v59, v7
	v_mul_f32_e32 v1, v35, v7
	v_fmac_f32_e32 v63, v35, v6
	v_fma_f32 v70, v59, v6, -v1
	global_load_dwordx2 v[6:7], v55, s[4:5] offset:728
	global_load_dwordx2 v[34:35], v56, s[4:5] offset:728
	s_waitcnt lgkmcnt(1)
	v_mul_f32_e32 v61, v152, v5
	v_mul_f32_e32 v1, v32, v5
	v_fmac_f32_e32 v61, v32, v4
	v_fma_f32 v62, v152, v4, -v1
	s_waitcnt vmcnt(10)
	v_mul_f32_e32 v32, v153, v121
	v_mul_f32_e32 v1, v33, v121
	v_fmac_f32_e32 v32, v33, v120
	v_fma_f32 v58, v153, v120, -v1
	global_load_dwordx2 v[120:121], v65, s[4:5] offset:728
	global_load_dwordx2 v[152:153], v71, s[4:5] offset:728
	ds_read2_b32 v[4:5], v79 offset0:16 offset1:124
	v_mul_f32_e32 v1, v30, v123
	s_waitcnt vmcnt(10)
	v_mul_f32_e32 v3, v29, v129
	s_waitcnt lgkmcnt(0)
	v_mul_f32_e32 v60, v4, v123
	v_fmac_f32_e32 v60, v30, v122
	v_fma_f32 v65, v4, v122, -v1
	ds_read2_b32 v[122:123], v44 offset0:96 offset1:204
	v_mul_f32_e32 v1, v31, v127
	v_mul_f32_e32 v33, v5, v127
	v_fma_f32 v59, v5, v126, -v1
	ds_read2_b32 v[4:5], v104 offset0:104 offset1:212
	s_waitcnt lgkmcnt(1)
	v_mul_f32_e32 v30, v122, v125
	v_mul_f32_e32 v1, v28, v125
	v_fmac_f32_e32 v33, v31, v126
	v_fmac_f32_e32 v30, v28, v124
	v_fma_f32 v31, v122, v124, -v1
	v_mul_f32_e32 v1, v123, v129
	v_fma_f32 v28, v123, v128, -v3
	ds_read2_b32 v[122:123], v91 offset0:112 offset1:220
	v_fmac_f32_e32 v1, v29, v128
	s_waitcnt lgkmcnt(1)
	v_mul_f32_e32 v29, v4, v131
	v_mul_f32_e32 v3, v26, v131
	v_fmac_f32_e32 v29, v26, v130
	v_fma_f32 v26, v4, v130, -v3
	s_waitcnt vmcnt(9)
	v_mul_f32_e32 v3, v27, v133
	ds_read2_b32 v[124:125], v96 offset0:64 offset1:172
	v_mul_f32_e32 v55, v5, v133
	v_fma_f32 v5, v5, v132, -v3
	s_waitcnt lgkmcnt(1)
	v_mul_f32_e32 v3, v122, v135
	v_fmac_f32_e32 v3, v24, v134
	v_mul_f32_e32 v4, v24, v135
	s_waitcnt vmcnt(8)
	v_mul_f32_e32 v24, v25, v139
	v_fma_f32 v4, v122, v134, -v4
	v_mul_f32_e32 v71, v123, v139
	v_fma_f32 v72, v123, v138, -v24
	ds_read2_b32 v[122:123], v92 offset0:72 offset1:180
	s_waitcnt lgkmcnt(1)
	v_mul_f32_e32 v56, v124, v137
	s_waitcnt vmcnt(7)
	v_mul_f32_e32 v81, v125, v141
	v_fmac_f32_e32 v56, v22, v136
	v_mul_f32_e32 v22, v22, v137
	v_fmac_f32_e32 v81, v23, v140
	v_mul_f32_e32 v23, v23, v141
	v_fma_f32 v22, v124, v136, -v22
	v_fma_f32 v82, v125, v140, -v23
	ds_read2_b32 v[124:125], v111 offset0:24 offset1:132
	v_fmac_f32_e32 v71, v25, v138
	s_waitcnt lgkmcnt(1)
	v_mul_f32_e32 v25, v122, v143
	v_fmac_f32_e32 v25, v20, v142
	v_mul_f32_e32 v20, v20, v143
	v_fmac_f32_e32 v55, v27, v132
	v_fma_f32 v27, v122, v142, -v20
	s_waitcnt vmcnt(6)
	v_mul_f32_e32 v20, v21, v147
	v_mul_f32_e32 v23, v123, v147
	v_fma_f32 v24, v123, v146, -v20
	ds_read2_b32 v[122:123], v107 offset0:32 offset1:140
	s_waitcnt lgkmcnt(1)
	v_mul_f32_e32 v84, v124, v145
	v_fmac_f32_e32 v84, v18, v144
	v_mul_f32_e32 v18, v18, v145
	v_fma_f32 v86, v124, v144, -v18
	s_waitcnt vmcnt(4)
	v_mul_f32_e32 v89, v125, v149
	v_mul_f32_e32 v18, v19, v149
	v_fmac_f32_e32 v89, v19, v148
	v_fma_f32 v90, v125, v148, -v18
	ds_read2_b32 v[18:19], v99 offset0:120 offset1:228
	s_waitcnt lgkmcnt(1)
	v_mul_f32_e32 v20, v122, v151
	v_fmac_f32_e32 v20, v16, v150
	v_mul_f32_e32 v16, v16, v151
	v_fmac_f32_e32 v23, v21, v146
	v_fma_f32 v21, v122, v150, -v16
	v_mul_f32_e32 v16, v123, v41
	v_fmac_f32_e32 v16, v17, v40
	v_mul_f32_e32 v17, v17, v41
	v_fma_f32 v17, v123, v40, -v17
	s_waitcnt vmcnt(3) lgkmcnt(0)
	v_mul_f32_e32 v40, v18, v7
	v_mul_f32_e32 v7, v14, v7
	v_fmac_f32_e32 v40, v14, v6
	v_fma_f32 v78, v18, v6, -v7
	ds_read2_b32 v[6:7], v112 offset0:80 offset1:188
	s_waitcnt vmcnt(2)
	v_mul_f32_e32 v14, v19, v35
	v_fmac_f32_e32 v14, v15, v34
	v_mul_f32_e32 v15, v15, v35
	v_fma_f32 v76, v19, v34, -v15
	s_waitcnt vmcnt(1) lgkmcnt(0)
	v_mul_f32_e32 v18, v6, v121
	v_fmac_f32_e32 v18, v12, v120
	v_mul_f32_e32 v12, v12, v121
	v_fma_f32 v74, v6, v120, -v12
	s_waitcnt vmcnt(0)
	v_mul_f32_e32 v12, v13, v153
	v_fma_f32 v15, v7, v152, -v12
	v_add_f32_e32 v12, v63, v71
	v_mul_f32_e32 v6, v7, v153
	v_add_f32_e32 v7, v11, v63
	v_fmac_f32_e32 v11, -0.5, v12
	v_sub_f32_e32 v12, v70, v72
	v_add_f32_e32 v19, v56, v40
	v_fmac_f32_e32 v6, v13, v152
	v_fmamk_f32 v13, v12, 0xbf5db3d7, v11
	v_fmac_f32_e32 v11, 0x3f5db3d7, v12
	v_add_f32_e32 v12, v61, v56
	v_fmac_f32_e32 v61, -0.5, v19
	v_sub_f32_e32 v19, v22, v78
	v_fmamk_f32 v93, v19, 0xbf5db3d7, v61
	v_fmac_f32_e32 v61, 0x3f5db3d7, v19
	v_add_f32_e32 v19, v22, v78
	v_add_f32_e32 v94, v62, v22
	v_fmac_f32_e32 v62, -0.5, v19
	v_sub_f32_e32 v19, v56, v40
	v_fmamk_f32 v97, v19, 0x3f5db3d7, v62
	v_fmac_f32_e32 v62, 0xbf5db3d7, v19
	v_mul_f32_e32 v22, 0xbf5db3d7, v62
	v_fmac_f32_e32 v22, -0.5, v61
	v_add_f32_e32 v19, v0, v3
	v_add_f32_e32 v34, v11, v22
	v_sub_f32_e32 v11, v11, v22
	v_add_f32_e32 v22, v68, v55
	v_add_f32_e32 v35, v55, v16
	;; [unrolled: 1-line block ×3, first 2 shown]
	v_fma_f32 v19, -0.5, v19, v10
	v_add_f32_e32 v10, v10, v0
	v_fmac_f32_e32 v68, -0.5, v35
	v_add_f32_e32 v35, v69, v5
	v_fmac_f32_e32 v69, -0.5, v41
	v_add_f32_e32 v22, v22, v16
	v_sub_f32_e32 v16, v55, v16
	v_mov_b32_e32 v41, 0x870
	v_cndmask_b32_e32 v41, 0, v41, vcc
	v_add_f32_e32 v10, v10, v3
	v_sub_f32_e32 v5, v5, v17
	v_fmamk_f32 v55, v16, 0x3f5db3d7, v69
	v_fmac_f32_e32 v69, 0xbf5db3d7, v16
	v_add3_u32 v46, 0, v41, v46
	v_fmamk_f32 v41, v5, 0xbf5db3d7, v68
	v_sub_f32_e32 v102, v2, v4
	v_add_f32_e32 v106, v10, v22
	v_fmac_f32_e32 v68, 0x3f5db3d7, v5
	v_sub_f32_e32 v5, v10, v22
	v_mul_f32_e32 v10, 0xbf5db3d7, v69
	v_mul_f32_e32 v56, 0xbf5db3d7, v55
	v_fmamk_f32 v105, v102, 0xbf5db3d7, v19
	v_fmac_f32_e32 v19, 0x3f5db3d7, v102
	v_fmac_f32_e32 v10, -0.5, v68
	v_fmac_f32_e32 v56, 0.5, v41
	v_add_f32_e32 v16, v19, v10
	v_add_u32_e32 v102, 0x200, v46
	ds_read_b32 v98, v116
	ds_read_b32 v101, v115
	ds_read2_b32 v[120:121], v75 offset1:108
	s_waitcnt lgkmcnt(0)
	s_barrier
	v_add_f32_e32 v109, v105, v56
	ds_write2_b32 v102, v16, v5 offset0:52 offset1:142
	v_sub_f32_e32 v5, v105, v56
	v_sub_f32_e32 v10, v19, v10
	v_add_u32_e32 v105, 0x400, v46
	ds_write2_b32 v105, v5, v10 offset0:104 offset1:194
	v_add_f32_e32 v5, v12, v40
	v_lshlrev_b32_sdwa v10, v64, v48 dst_sel:DWORD dst_unused:UNUSED_PAD src0_sel:DWORD src1_sel:BYTE_0
	v_mul_u32_u24_e32 v12, 0x870, v47
	v_add3_u32 v47, 0, v12, v10
	v_add_f32_e32 v7, v7, v71
	v_mul_f32_e32 v10, 0xbf5db3d7, v97
	v_fmac_f32_e32 v10, 0.5, v93
	v_add_f32_e32 v12, v7, v5
	v_sub_f32_e32 v5, v7, v5
	v_add_u32_e32 v64, 0x200, v47
	ds_write2_b32 v46, v106, v109 offset1:90
	v_add_f32_e32 v16, v13, v10
	ds_write2_b32 v64, v34, v5 offset0:52 offset1:142
	v_sub_f32_e32 v5, v13, v10
	v_add_u32_e32 v106, 0x400, v47
	v_add_f32_e32 v7, v60, v25
	v_add_f32_e32 v10, v81, v14
	ds_write2_b32 v106, v5, v11 offset0:104 offset1:194
	v_add_f32_e32 v5, v45, v60
	v_fmac_f32_e32 v45, -0.5, v7
	v_add_f32_e32 v7, v32, v81
	v_fmac_f32_e32 v32, -0.5, v10
	v_add_f32_e32 v10, v82, v76
	ds_write2_b32 v47, v12, v16 offset1:90
	v_add_f32_e32 v109, v58, v82
	v_fmac_f32_e32 v58, -0.5, v10
	v_sub_f32_e32 v10, v81, v14
	v_mul_u32_u24_e32 v11, 0x870, v53
	v_lshlrev_b32_e32 v12, 2, v54
	v_add_f32_e32 v7, v7, v14
	v_add3_u32 v53, 0, v11, v12
	v_add_f32_e32 v5, v5, v25
	v_sub_f32_e32 v11, v82, v76
	v_fmamk_f32 v82, v10, 0x3f5db3d7, v58
	v_fmac_f32_e32 v58, 0xbf5db3d7, v10
	v_fmamk_f32 v81, v11, 0xbf5db3d7, v32
	v_sub_f32_e32 v13, v65, v27
	v_add_f32_e32 v16, v5, v7
	v_fmac_f32_e32 v32, 0x3f5db3d7, v11
	v_sub_f32_e32 v5, v5, v7
	v_mul_f32_e32 v7, 0xbf5db3d7, v58
	v_mul_f32_e32 v12, 0xbf5db3d7, v82
	v_fmamk_f32 v14, v13, 0xbf5db3d7, v45
	v_fmac_f32_e32 v45, 0x3f5db3d7, v13
	v_fmac_f32_e32 v7, -0.5, v32
	v_fmac_f32_e32 v12, 0.5, v81
	v_add_f32_e32 v10, v45, v7
	v_add_u32_e32 v110, 0x200, v53
	ds_write2_b32 v110, v10, v5 offset0:52 offset1:142
	v_sub_f32_e32 v5, v14, v12
	v_sub_f32_e32 v7, v45, v7
	v_add_u32_e32 v45, 0x400, v53
	ds_write2_b32 v45, v5, v7 offset0:104 offset1:194
	v_add_f32_e32 v7, v33, v23
	v_add_f32_e32 v10, v84, v18
	;; [unrolled: 1-line block ×3, first 2 shown]
	v_fmac_f32_e32 v43, -0.5, v7
	v_add_f32_e32 v7, v30, v84
	v_fmac_f32_e32 v30, -0.5, v10
	v_add_f32_e32 v10, v86, v74
	v_add_f32_e32 v19, v14, v12
	;; [unrolled: 1-line block ×3, first 2 shown]
	v_fmac_f32_e32 v31, -0.5, v10
	v_sub_f32_e32 v10, v84, v18
	v_mul_u32_u24_e32 v11, 0x870, v49
	v_lshlrev_b32_e32 v12, 2, v50
	v_add_f32_e32 v7, v7, v18
	v_add3_u32 v84, 0, v11, v12
	v_add_f32_e32 v5, v5, v23
	v_sub_f32_e32 v11, v86, v74
	v_fmamk_f32 v114, v10, 0x3f5db3d7, v31
	v_fmac_f32_e32 v31, 0xbf5db3d7, v10
	ds_write2_b32 v53, v16, v19 offset1:90
	v_fmamk_f32 v86, v11, 0xbf5db3d7, v30
	v_sub_f32_e32 v13, v59, v24
	v_add_f32_e32 v16, v5, v7
	v_fmac_f32_e32 v30, 0x3f5db3d7, v11
	v_sub_f32_e32 v5, v5, v7
	v_mul_f32_e32 v7, 0xbf5db3d7, v31
	v_mul_f32_e32 v12, 0xbf5db3d7, v114
	v_fmamk_f32 v14, v13, 0xbf5db3d7, v43
	v_fmac_f32_e32 v43, 0x3f5db3d7, v13
	v_fmac_f32_e32 v7, -0.5, v30
	v_fmac_f32_e32 v12, 0.5, v86
	v_add_f32_e32 v10, v43, v7
	v_add_u32_e32 v117, 0x200, v84
	ds_write2_b32 v117, v10, v5 offset0:52 offset1:142
	v_sub_f32_e32 v5, v14, v12
	v_sub_f32_e32 v7, v43, v7
	v_add_u32_e32 v119, 0x400, v84
	ds_write2_b32 v119, v5, v7 offset0:104 offset1:194
	v_add_f32_e32 v7, v29, v20
	v_add_f32_e32 v10, v89, v6
	;; [unrolled: 1-line block ×3, first 2 shown]
	v_fmac_f32_e32 v42, -0.5, v7
	v_add_f32_e32 v7, v1, v89
	v_fmac_f32_e32 v1, -0.5, v10
	v_add_f32_e32 v10, v90, v15
	v_add_f32_e32 v122, v28, v90
	v_fmac_f32_e32 v28, -0.5, v10
	v_add_f32_e32 v7, v7, v6
	v_sub_f32_e32 v6, v89, v6
	v_mul_u32_u24_e32 v10, 0x870, v51
	v_lshlrev_b32_e32 v11, 2, v52
	v_add3_u32 v52, 0, v10, v11
	v_sub_f32_e32 v10, v90, v15
	v_fmamk_f32 v90, v6, 0x3f5db3d7, v28
	v_fmac_f32_e32 v28, 0xbf5db3d7, v6
	v_add_f32_e32 v18, v14, v12
	v_fmamk_f32 v89, v10, 0xbf5db3d7, v1
	v_sub_f32_e32 v12, v26, v21
	v_fmac_f32_e32 v1, 0x3f5db3d7, v10
	v_mul_f32_e32 v6, 0xbf5db3d7, v28
	v_add_f32_e32 v5, v5, v20
	v_mul_f32_e32 v11, 0xbf5db3d7, v90
	v_fmamk_f32 v13, v12, 0xbf5db3d7, v42
	v_fmac_f32_e32 v42, 0x3f5db3d7, v12
	v_fmac_f32_e32 v6, -0.5, v1
	v_fmac_f32_e32 v11, 0.5, v89
	v_add_f32_e32 v14, v5, v7
	v_sub_f32_e32 v5, v5, v7
	v_add_f32_e32 v7, v42, v6
	v_add_u32_e32 v123, 0x200, v52
	ds_write2_b32 v84, v16, v18 offset1:90
	ds_write2_b32 v123, v7, v5 offset0:52 offset1:142
	v_sub_f32_e32 v5, v13, v11
	v_sub_f32_e32 v6, v42, v6
	v_add_u32_e32 v124, 0x400, v52
	ds_write2_b32 v124, v5, v6 offset0:104 offset1:194
	v_add_f32_e32 v5, v120, v2
	v_add_f32_e32 v2, v2, v4
	;; [unrolled: 1-line block ×3, first 2 shown]
	v_sub_f32_e32 v126, v0, v3
	v_mul_f32_e32 v128, 0.5, v55
	v_fma_f32 v120, -0.5, v2, v120
	ds_write2_b32 v52, v14, v16 offset1:90
	v_add_f32_e32 v125, v5, v4
	v_add_f32_e32 v127, v35, v17
	v_fmac_f32_e32 v128, 0x3f5db3d7, v41
	s_waitcnt lgkmcnt(0)
	s_barrier
	ds_read2_b32 v[48:49], v75 offset1:108
	ds_read_b32 v22, v116
	ds_read_b32 v14, v115
	;; [unrolled: 1-line block ×4, first 2 shown]
	ds_read2_b32 v[54:55], v77 offset0:56 offset1:164
	ds_read2_b32 v[12:13], v104 offset0:104 offset1:212
	;; [unrolled: 1-line block ×12, first 2 shown]
	v_fmamk_f32 v73, v126, 0x3f5db3d7, v120
	v_add_f32_e32 v115, v125, v127
	v_add_f32_e32 v116, v73, v128
	s_waitcnt lgkmcnt(0)
	s_barrier
	ds_write2_b32 v46, v115, v116 offset1:90
	v_mul_f32_e32 v46, -0.5, v69
	v_fmac_f32_e32 v120, 0xbf5db3d7, v126
	v_fmac_f32_e32 v46, 0x3f5db3d7, v68
	v_sub_f32_e32 v68, v125, v127
	v_add_f32_e32 v69, v120, v46
	ds_write2_b32 v102, v69, v68 offset0:52 offset1:142
	v_sub_f32_e32 v68, v73, v128
	v_sub_f32_e32 v46, v120, v46
	ds_write2_b32 v105, v68, v46 offset0:104 offset1:194
	v_add_f32_e32 v68, v70, v72
	v_add_f32_e32 v46, v121, v70
	v_fmac_f32_e32 v121, -0.5, v68
	v_sub_f32_e32 v63, v63, v71
	v_mul_f32_e32 v69, 0.5, v97
	v_add_f32_e32 v46, v46, v72
	v_add_f32_e32 v68, v94, v78
	v_fmac_f32_e32 v69, 0x3f5db3d7, v93
	v_fmamk_f32 v70, v63, 0x3f5db3d7, v121
	v_add_f32_e32 v71, v46, v68
	v_add_f32_e32 v72, v70, v69
	ds_write2_b32 v47, v71, v72 offset1:90
	v_mul_f32_e32 v47, -0.5, v62
	v_fmac_f32_e32 v121, 0xbf5db3d7, v63
	v_fmac_f32_e32 v47, 0x3f5db3d7, v61
	v_sub_f32_e32 v46, v46, v68
	v_add_f32_e32 v61, v121, v47
	ds_write2_b32 v64, v61, v46 offset0:52 offset1:142
	v_sub_f32_e32 v46, v121, v47
	v_sub_f32_e32 v47, v70, v69
	ds_write2_b32 v106, v47, v46 offset0:104 offset1:194
	v_add_f32_e32 v46, v98, v65
	v_add_f32_e32 v46, v46, v27
	;; [unrolled: 1-line block ×3, first 2 shown]
	v_fmac_f32_e32 v98, -0.5, v27
	v_sub_f32_e32 v25, v60, v25
	v_fmamk_f32 v60, v25, 0x3f5db3d7, v98
	v_fmac_f32_e32 v98, 0xbf5db3d7, v25
	v_mul_f32_e32 v25, -0.5, v58
	v_add_f32_e32 v27, v109, v76
	v_mul_f32_e32 v47, 0.5, v82
	v_fmac_f32_e32 v25, 0x3f5db3d7, v32
	v_fmac_f32_e32 v47, 0x3f5db3d7, v81
	v_add_f32_e32 v61, v46, v27
	v_sub_f32_e32 v27, v46, v27
	v_add_f32_e32 v32, v98, v25
	ds_write2_b32 v110, v32, v27 offset0:52 offset1:142
	v_sub_f32_e32 v27, v60, v47
	v_sub_f32_e32 v25, v98, v25
	ds_write2_b32 v45, v27, v25 offset0:104 offset1:194
	v_add_f32_e32 v25, v101, v59
	v_add_f32_e32 v25, v25, v24
	;; [unrolled: 1-line block ×3, first 2 shown]
	v_fmac_f32_e32 v101, -0.5, v24
	v_sub_f32_e32 v23, v33, v23
	v_fmamk_f32 v32, v23, 0x3f5db3d7, v101
	v_fmac_f32_e32 v101, 0xbf5db3d7, v23
	v_mul_f32_e32 v23, -0.5, v31
	v_add_f32_e32 v24, v113, v74
	v_mul_f32_e32 v27, 0.5, v114
	v_fmac_f32_e32 v23, 0x3f5db3d7, v30
	v_add_f32_e32 v62, v60, v47
	v_fmac_f32_e32 v27, 0x3f5db3d7, v86
	v_add_f32_e32 v33, v25, v24
	v_sub_f32_e32 v24, v25, v24
	v_add_f32_e32 v25, v101, v23
	ds_write2_b32 v53, v61, v62 offset1:90
	ds_write2_b32 v117, v25, v24 offset0:52 offset1:142
	v_sub_f32_e32 v24, v32, v27
	v_sub_f32_e32 v23, v101, v23
	ds_write2_b32 v119, v24, v23 offset0:104 offset1:194
	v_add_f32_e32 v23, v8, v26
	v_add_f32_e32 v23, v23, v21
	;; [unrolled: 1-line block ×3, first 2 shown]
	v_fmac_f32_e32 v8, -0.5, v21
	v_sub_f32_e32 v20, v29, v20
	v_mul_f32_e32 v21, 0.5, v90
	v_fmamk_f32 v24, v20, 0x3f5db3d7, v8
	v_fmac_f32_e32 v8, 0xbf5db3d7, v20
	v_mul_f32_e32 v20, -0.5, v28
	v_add_f32_e32 v15, v122, v15
	v_fmac_f32_e32 v21, 0x3f5db3d7, v89
	v_fmac_f32_e32 v20, 0x3f5db3d7, v1
	v_add_f32_e32 v45, v32, v27
	v_add_f32_e32 v25, v23, v15
	;; [unrolled: 1-line block ×3, first 2 shown]
	v_sub_f32_e32 v1, v23, v15
	v_sub_f32_e32 v15, v24, v21
	v_add_f32_e32 v21, v8, v20
	ds_write2_b32 v84, v33, v45 offset1:90
	ds_write2_b32 v52, v25, v26 offset1:90
	v_sub_f32_e32 v8, v8, v20
	ds_write2_b32 v123, v21, v1 offset0:52 offset1:142
	ds_write2_b32 v124, v15, v8 offset0:104 offset1:194
	s_waitcnt lgkmcnt(0)
	s_barrier
	s_and_saveexec_b64 s[12:13], s[0:1]
	s_cbranch_execz .LBB0_13
; %bb.12:
	v_mul_u32_u24_e32 v1, 5, v83
	v_lshlrev_b32_e32 v8, 3, v1
	v_mul_u32_u24_e32 v1, 5, v67
	v_lshl_add_u64 v[32:33], s[4:5], 0, v[8:9]
	v_lshlrev_b32_e32 v8, 3, v1
	v_mul_u32_u24_e32 v1, 5, v37
	v_lshl_add_u64 v[52:53], s[4:5], 0, v[8:9]
	;; [unrolled: 3-line block ×4, first 2 shown]
	v_lshlrev_b32_e32 v8, 3, v1
	s_mov_b64 s[0:1], 0x10c8
	v_lshl_add_u64 v[20:21], s[4:5], 0, v[8:9]
	v_lshl_add_u64 v[24:25], v[20:21], 0, s[0:1]
	v_add_co_u32_e32 v20, vcc, s11, v20
	v_sub_u32_e32 v1, 0, v95
	s_nop 0
	v_addc_co_u32_e32 v21, vcc, 0, v21, vcc
	global_load_dwordx4 v[62:65], v[20:21], off offset:200
	global_load_dwordx4 v[114:117], v[24:25], off offset:16
	global_load_dwordx2 v[118:119], v[24:25], off offset:32
	v_sub_u32_e32 v23, 0, v103
	v_sub_u32_e32 v15, 0, v100
	;; [unrolled: 1-line block ×3, first 2 shown]
	ds_read2_b32 v[30:31], v104 offset0:104 offset1:212
	ds_read2_b32 v[28:29], v107 offset0:32 offset1:140
	;; [unrolled: 1-line block ×10, first 2 shown]
	ds_read2_b32 v[74:75], v75 offset1:108
	ds_read2_b32 v[78:79], v77 offset0:56 offset1:164
	ds_read2_b32 v[76:77], v91 offset0:112 offset1:220
	v_mov_b32_e32 v90, v11
	v_mov_b32_e32 v92, v11
	v_add_u32_e32 v11, v87, v23
	v_add_u32_e32 v23, v80, v1
	v_mov_b32_e32 v8, v13
	v_mov_b32_e32 v82, v13
	v_add_u32_e32 v13, v85, v15
	v_add_u32_e32 v57, v88, v70
	ds_read_b32 v1, v11
	ds_read_b32 v15, v13
	;; [unrolled: 1-line block ×4, first 2 shown]
	v_lshl_add_u64 v[98:99], v[58:59], 0, s[0:1]
	v_add_co_u32_e32 v58, vcc, s11, v58
	s_waitcnt lgkmcnt(14)
	v_mov_b32_e32 v96, v29
	v_addc_co_u32_e32 v59, vcc, 0, v59, vcc
	global_load_dwordx4 v[84:87], v[58:59], off offset:200
	v_mov_b32_e32 v94, v31
	v_mov_b32_e32 v37, v9
	v_lshl_add_u64 v[36:37], v[36:37], 3, v[38:39]
	s_mov_b32 s9, s2
	s_mov_b32 s7, s2
	v_lshl_add_u64 v[38:39], v[32:33], 0, s[0:1]
	v_lshl_add_u64 v[70:71], v[52:53], 0, s[0:1]
	;; [unrolled: 1-line block ×3, first 2 shown]
	s_movk_i32 s0, 0x3000
	s_waitcnt vmcnt(3) lgkmcnt(5)
	v_pk_mul_f32 v[58:59], v[64:65], v[78:79] op_sel_hi:[1,0]
	s_waitcnt vmcnt(2) lgkmcnt(4)
	v_pk_mul_f32 v[100:101], v[116:117], v[76:77] op_sel_hi:[1,0]
	s_waitcnt vmcnt(1)
	v_pk_mul_f32 v[96:97], v[118:119], v[96:97] op_sel_hi:[1,0]
	s_waitcnt lgkmcnt(0)
	v_pk_mul_f32 v[88:89], v[62:63], v[88:89] op_sel_hi:[1,0]
	v_pk_fma_f32 v[102:103], v[54:55], v[64:65], v[58:59] op_sel:[0,0,1] op_sel_hi:[1,1,0]
	v_pk_fma_f32 v[58:59], v[54:55], v[64:65], v[58:59] op_sel:[0,0,1] op_sel_hi:[0,1,0] neg_lo:[1,0,0] neg_hi:[1,0,0]
	v_pk_fma_f32 v[64:65], v[50:51], v[116:117], v[100:101] op_sel:[0,0,1] op_sel_hi:[1,1,0]
	v_pk_fma_f32 v[100:101], v[50:51], v[116:117], v[100:101] op_sel:[0,0,1] op_sel_hi:[0,1,0] neg_lo:[1,0,0] neg_hi:[1,0,0]
	v_pk_fma_f32 v[106:107], v[90:91], v[118:119], v[96:97] op_sel:[0,0,1] op_sel_hi:[1,1,0]
	v_pk_fma_f32 v[90:91], v[92:93], v[118:119], v[96:97] op_sel:[0,0,1] op_sel_hi:[0,1,0] neg_lo:[1,0,0] neg_hi:[1,0,0]
	v_pk_fma_f32 v[92:93], v[56:57], v[62:63], v[88:89] op_sel:[0,0,1] op_sel_hi:[0,1,0]
	v_pk_fma_f32 v[56:57], v[56:57], v[62:63], v[88:89] op_sel:[0,0,1] op_sel_hi:[0,1,0] neg_lo:[1,0,0] neg_hi:[1,0,0]
	v_mov_b32_e32 v65, v101
	v_mov_b32_e32 v107, v91
	global_load_dwordx2 v[100:101], v[98:99], off offset:32
	global_load_dwordx4 v[88:91], v[98:99], off offset:16
	v_pk_mul_f32 v[94:95], v[114:115], v[94:95] op_sel_hi:[1,0]
	v_mov_b32_e32 v103, v59
	v_pk_fma_f32 v[104:105], v[8:9], v[114:115], v[94:95] op_sel:[0,0,1] op_sel_hi:[1,1,0]
	v_pk_fma_f32 v[94:95], v[82:83], v[114:115], v[94:95] op_sel:[0,0,1] op_sel_hi:[0,1,0] neg_lo:[1,0,0] neg_hi:[1,0,0]
	v_mov_b32_e32 v105, v95
	v_mov_b32_e32 v8, v92
	v_pk_add_f32 v[58:59], v[104:105], v[106:107]
	v_mov_b32_e32 v93, v57
	v_pk_add_f32 v[62:63], v[104:105], v[106:107] neg_lo:[0,1] neg_hi:[0,1]
	v_fmac_f32_e32 v8, -0.5, v58
	v_fmac_f32_e32 v57, -0.5, v59
	v_mov_b32_e32 v58, v48
	v_mov_b32_e32 v59, v74
	v_fmamk_f32 v50, v63, 0x3f5db3d7, v8
	v_fmamk_f32 v54, v62, 0xbf5db3d7, v57
	v_fmac_f32_e32 v8, 0xbf5db3d7, v63
	v_fmac_f32_e32 v57, 0x3f5db3d7, v62
	v_pk_add_f32 v[62:63], v[58:59], v[102:103]
	v_pk_add_f32 v[92:93], v[92:93], v[104:105]
	;; [unrolled: 1-line block ×4, first 2 shown]
	v_mov_b32_e32 v48, v57
	v_pk_add_f32 v[94:95], v[62:63], v[92:93]
	global_store_dwordx2 v[36:37], v[94:95], off
	v_pk_add_f32 v[94:95], v[102:103], v[64:65]
	v_pk_add_f32 v[64:65], v[102:103], v[64:65] neg_lo:[0,1] neg_hi:[0,1]
	v_pk_fma_f32 v[58:59], v[94:95], 0.5, v[58:59] op_sel_hi:[1,0,1] neg_lo:[1,0,0] neg_hi:[1,0,0]
	v_pk_mul_f32 v[64:65], v[64:65], s[2:3] op_sel_hi:[1,0]
	s_mov_b32 s3, s8
	v_pk_mul_f32 v[56:57], v[48:49], s[2:3] op_sel_hi:[0,1]
	v_pk_add_f32 v[94:95], v[58:59], v[64:65] op_sel:[0,1] op_sel_hi:[1,0] neg_lo:[0,1] neg_hi:[0,1]
	v_pk_add_f32 v[96:97], v[58:59], v[64:65] op_sel:[0,1] op_sel_hi:[1,0]
	v_pk_fma_f32 v[98:99], v[8:9], s[8:9], v[56:57] neg_lo:[0,0,1] neg_hi:[0,0,1]
	v_pk_fma_f32 v[56:57], v[8:9], s[8:9], v[56:57] op_sel_hi:[0,1,1]
	v_mov_b32_e32 v64, v94
	v_mov_b32_e32 v65, v97
	;; [unrolled: 1-line block ×3, first 2 shown]
	v_add_co_u32_e32 v56, vcc, s11, v36
	v_pk_add_f32 v[58:59], v[64:65], v[98:99]
	s_nop 0
	v_addc_co_u32_e32 v57, vcc, 0, v37, vcc
	global_store_dwordx2 v[56:57], v[58:59], off offset:224
	v_pk_mul_f32 v[58:59], v[54:55], s[2:3] op_sel_hi:[0,1]
	v_pk_fma_f32 v[102:103], v[50:51], s[6:7], v[58:59] op_sel_hi:[0,1,1] neg_lo:[0,0,1] neg_hi:[0,0,1]
	v_add_co_u32_e32 v58, vcc, s10, v36
	v_pk_add_f32 v[92:93], v[62:63], v[92:93] neg_lo:[0,1] neg_hi:[0,1]
	s_nop 0
	v_addc_co_u32_e32 v59, vcc, 0, v37, vcc
	v_add_co_u32_e32 v62, vcc, s0, v36
	s_movk_i32 s0, 0x4000
	s_nop 0
	v_addc_co_u32_e32 v63, vcc, 0, v37, vcc
	global_store_dwordx2 v[62:63], v[92:93], off offset:672
	v_pk_add_f32 v[92:93], v[64:65], v[98:99] neg_lo:[0,1] neg_hi:[0,1]
	v_add_co_u32_e32 v64, vcc, s0, v36
	v_mov_b32_e32 v97, v95
	s_nop 0
	v_addc_co_u32_e32 v65, vcc, 0, v37, vcc
	v_pk_add_f32 v[94:95], v[96:97], v[102:103]
	v_add_co_u32_e32 v72, vcc, s11, v72
	global_store_dwordx2 v[58:59], v[94:95], off offset:448
	global_store_dwordx2 v[64:65], v[92:93], off offset:896
	v_addc_co_u32_e32 v73, vcc, 0, v73, vcc
	v_pk_add_f32 v[102:103], v[96:97], v[102:103] neg_lo:[0,1] neg_hi:[0,1]
	global_load_dwordx4 v[92:95], v[72:73], off offset:200
	global_load_dwordx2 v[104:105], v[80:81], off offset:32
	global_load_dwordx4 v[96:99], v[80:81], off offset:16
	v_mov_b32_e32 v48, v79
	v_mov_b32_e32 v8, v55
	s_waitcnt vmcnt(10)
	v_pk_mul_f32 v[78:79], v[86:87], v[48:49] op_sel_hi:[1,0]
	v_mov_b32_e32 v48, v77
	v_pk_fma_f32 v[80:81], v[8:9], v[86:87], v[78:79] op_sel:[0,0,1] op_sel_hi:[1,1,0]
	v_pk_fma_f32 v[54:55], v[8:9], v[86:87], v[78:79] op_sel:[0,0,1] op_sel_hi:[0,1,0] neg_lo:[1,0,0] neg_hi:[1,0,0]
	v_mov_b32_e32 v81, v55
	v_mov_b32_e32 v8, v51
	s_waitcnt vmcnt(8)
	v_pk_mul_f32 v[54:55], v[90:91], v[48:49] op_sel_hi:[1,0]
	v_pk_mul_f32 v[86:87], v[84:85], v[60:61] op_sel_hi:[1,0]
	v_pk_fma_f32 v[76:77], v[8:9], v[90:91], v[54:55] op_sel:[0,0,1] op_sel_hi:[1,1,0]
	v_pk_fma_f32 v[50:51], v[8:9], v[90:91], v[54:55] op_sel:[0,0,1] op_sel_hi:[0,1,0] neg_lo:[1,0,0] neg_hi:[1,0,0]
	v_mov_b32_e32 v77, v51
	v_pk_mul_f32 v[50:51], v[88:89], v[68:69] op_sel_hi:[1,0]
	v_mov_b32_e32 v74, v49
	v_pk_fma_f32 v[54:55], v[42:43], v[88:89], v[50:51] op_sel:[0,0,1] op_sel_hi:[1,1,0]
	v_pk_fma_f32 v[50:51], v[42:43], v[88:89], v[50:51] op_sel:[0,0,1] op_sel_hi:[0,1,0] neg_lo:[1,0,0] neg_hi:[1,0,0]
	v_mov_b32_e32 v55, v51
	v_pk_mul_f32 v[50:51], v[100:101], v[66:67] op_sel_hi:[1,0]
	v_pk_fma_f32 v[88:89], v[34:35], v[84:85], v[86:87] op_sel:[0,0,1] op_sel_hi:[0,1,0]
	v_pk_fma_f32 v[78:79], v[40:41], v[100:101], v[50:51] op_sel:[0,0,1] op_sel_hi:[1,1,0]
	v_pk_fma_f32 v[50:51], v[40:41], v[100:101], v[50:51] op_sel:[0,0,1] op_sel_hi:[0,1,0] neg_lo:[1,0,0] neg_hi:[1,0,0]
	v_mov_b32_e32 v79, v51
	v_pk_fma_f32 v[84:85], v[34:35], v[84:85], v[86:87] op_sel:[0,0,1] op_sel_hi:[0,1,0] neg_lo:[1,0,0] neg_hi:[1,0,0]
	v_pk_add_f32 v[50:51], v[54:55], v[78:79]
	v_mov_b32_e32 v89, v85
	v_mov_b32_e32 v8, v88
	v_fmac_f32_e32 v8, -0.5, v50
	v_fmac_f32_e32 v85, -0.5, v51
	v_pk_add_f32 v[48:49], v[74:75], v[80:81]
	v_pk_add_f32 v[50:51], v[88:89], v[54:55]
	;; [unrolled: 1-line block ×4, first 2 shown]
	v_pk_add_f32 v[86:87], v[54:55], v[78:79] neg_lo:[0,1] neg_hi:[0,1]
	v_pk_add_f32 v[54:55], v[48:49], v[50:51]
	v_fmamk_f32 v40, v86, 0xbf5db3d7, v85
	v_fmac_f32_e32 v85, 0x3f5db3d7, v86
	global_store_dwordx2 v[36:37], v[54:55], off offset:864
	v_pk_add_f32 v[54:55], v[80:81], v[76:77]
	v_mov_b32_e32 v42, v85
	v_pk_fma_f32 v[54:55], v[54:55], 0.5, v[74:75] op_sel_hi:[1,0,1] neg_lo:[1,0,0] neg_hi:[1,0,0]
	v_pk_add_f32 v[74:75], v[80:81], v[76:77] neg_lo:[0,1] neg_hi:[0,1]
	v_fmamk_f32 v34, v87, 0x3f5db3d7, v8
	v_fmac_f32_e32 v8, 0xbf5db3d7, v87
	v_pk_mul_f32 v[74:75], v[74:75], s[2:3] op_sel_hi:[1,0]
	v_pk_mul_f32 v[78:79], v[42:43], s[2:3] op_sel_hi:[0,1]
	v_pk_add_f32 v[76:77], v[54:55], v[74:75] op_sel:[0,1] op_sel_hi:[1,0] neg_lo:[0,1] neg_hi:[0,1]
	v_pk_add_f32 v[54:55], v[54:55], v[74:75] op_sel:[0,1] op_sel_hi:[1,0]
	v_pk_fma_f32 v[80:81], v[8:9], s[8:9], v[78:79] neg_lo:[0,0,1] neg_hi:[0,0,1]
	v_pk_fma_f32 v[78:79], v[8:9], s[8:9], v[78:79] op_sel_hi:[0,1,1]
	v_mov_b32_e32 v74, v76
	v_mov_b32_e32 v75, v55
	;; [unrolled: 1-line block ×3, first 2 shown]
	v_pk_add_f32 v[78:79], v[74:75], v[80:81]
	s_movk_i32 s0, 0x5000
	global_store_dwordx2 v[56:57], v[78:79], off offset:1088
	v_pk_mul_f32 v[78:79], v[40:41], s[2:3] op_sel_hi:[0,1]
	v_pk_add_f32 v[48:49], v[48:49], v[50:51] neg_lo:[0,1] neg_hi:[0,1]
	v_add_co_u32_e32 v72, vcc, s0, v36
	v_pk_fma_f32 v[78:79], v[34:35], s[6:7], v[78:79] op_sel_hi:[0,1,1] neg_lo:[0,0,1] neg_hi:[0,0,1]
	v_mov_b32_e32 v55, v77
	global_store_dwordx2 v[62:63], v[48:49], off offset:1536
	v_pk_add_f32 v[48:49], v[74:75], v[80:81] neg_lo:[0,1] neg_hi:[0,1]
	v_addc_co_u32_e32 v73, vcc, 0, v37, vcc
	global_store_dwordx2 v[64:65], v[48:49], off offset:1760
	v_pk_add_f32 v[48:49], v[54:55], v[78:79] neg_lo:[0,1] neg_hi:[0,1]
	global_store_dwordx2 v[72:73], v[48:49], off offset:1984
	v_add_co_u32_e32 v48, vcc, s11, v52
	v_pk_add_f32 v[76:77], v[54:55], v[78:79]
	s_nop 0
	v_addc_co_u32_e32 v49, vcc, 0, v53, vcc
	global_load_dwordx4 v[48:51], v[48:49], off offset:200
	v_mov_b32_e32 v8, v69
	global_store_dwordx2 v[72:73], v[102:103], off offset:1120
	s_waitcnt vmcnt(9)
	v_pk_mul_f32 v[52:53], v[94:95], v[46:47] op_sel_hi:[1,0]
	global_store_dwordx2 v[58:59], v[76:77], off offset:1312
	v_pk_fma_f32 v[74:75], v[18:19], v[94:95], v[52:53] op_sel:[0,0,1] op_sel_hi:[1,1,0]
	v_pk_fma_f32 v[52:53], v[18:19], v[94:95], v[52:53] op_sel:[0,0,1] op_sel_hi:[0,1,0] neg_lo:[1,0,0] neg_hi:[1,0,0]
	v_mov_b32_e32 v75, v53
	s_waitcnt vmcnt(8)
	v_pk_mul_f32 v[76:77], v[98:99], v[44:45] op_sel_hi:[1,0]
	global_load_dwordx2 v[80:81], v[70:71], off offset:32
	global_load_dwordx4 v[52:55], v[70:71], off offset:16
	v_pk_fma_f32 v[78:79], v[16:17], v[98:99], v[76:77] op_sel:[0,0,1] op_sel_hi:[1,1,0]
	v_pk_fma_f32 v[70:71], v[16:17], v[98:99], v[76:77] op_sel:[0,0,1] op_sel_hi:[0,1,0] neg_lo:[1,0,0] neg_hi:[1,0,0]
	v_pk_mul_f32 v[68:69], v[96:97], v[8:9] op_sel_hi:[1,0]
	v_mov_b32_e32 v8, v43
	v_mov_b32_e32 v79, v71
	v_pk_fma_f32 v[70:71], v[8:9], v[96:97], v[68:69] op_sel:[0,0,1] op_sel_hi:[1,1,0]
	v_pk_fma_f32 v[42:43], v[8:9], v[96:97], v[68:69] op_sel:[0,0,1] op_sel_hi:[0,1,0] neg_lo:[1,0,0] neg_hi:[1,0,0]
	v_mov_b32_e32 v8, v67
	v_mov_b32_e32 v71, v43
	v_pk_mul_f32 v[42:43], v[104:105], v[8:9] op_sel_hi:[1,0]
	v_mov_b32_e32 v8, v41
	v_pk_fma_f32 v[66:67], v[8:9], v[104:105], v[42:43] op_sel:[0,0,1] op_sel_hi:[1,1,0]
	v_pk_fma_f32 v[40:41], v[8:9], v[104:105], v[42:43] op_sel:[0,0,1] op_sel_hi:[0,1,0] neg_lo:[1,0,0] neg_hi:[1,0,0]
	v_mov_b32_e32 v8, v61
	v_pk_mul_f32 v[42:43], v[92:93], v[8:9] op_sel_hi:[1,0]
	v_mov_b32_e32 v8, v35
	v_mov_b32_e32 v67, v41
	v_pk_fma_f32 v[34:35], v[8:9], v[92:93], v[42:43] op_sel:[0,0,1] op_sel_hi:[0,1,0]
	v_pk_fma_f32 v[42:43], v[8:9], v[92:93], v[42:43] op_sel:[0,0,1] op_sel_hi:[0,1,0] neg_lo:[1,0,0] neg_hi:[1,0,0]
	v_pk_add_f32 v[40:41], v[70:71], v[66:67]
	v_mov_b32_e32 v35, v43
	v_mov_b32_e32 v8, v34
	v_fmac_f32_e32 v8, -0.5, v40
	v_fmac_f32_e32 v43, -0.5, v41
	v_pk_add_f32 v[40:41], v[22:23], v[74:75]
	v_pk_add_f32 v[34:35], v[34:35], v[70:71]
	v_pk_add_f32 v[60:61], v[70:71], v[66:67] neg_lo:[0,1] neg_hi:[0,1]
	v_pk_add_f32 v[40:41], v[40:41], v[78:79]
	v_pk_add_f32 v[34:35], v[34:35], v[66:67]
	v_fmamk_f32 v16, v61, 0x3f5db3d7, v8
	v_fmamk_f32 v18, v60, 0xbf5db3d7, v43
	v_fmac_f32_e32 v8, 0xbf5db3d7, v61
	v_fmac_f32_e32 v43, 0x3f5db3d7, v60
	v_pk_add_f32 v[60:61], v[40:41], v[34:35]
	global_store_dwordx2 v[36:37], v[60:61], off offset:1728
	v_pk_add_f32 v[60:61], v[74:75], v[78:79]
	v_mov_b32_e32 v42, v43
	v_pk_fma_f32 v[22:23], v[60:61], 0.5, v[22:23] op_sel_hi:[1,0,1] neg_lo:[1,0,0] neg_hi:[1,0,0]
	v_pk_add_f32 v[60:61], v[74:75], v[78:79] neg_lo:[0,1] neg_hi:[0,1]
	v_pk_mul_f32 v[42:43], v[42:43], s[2:3] op_sel_hi:[0,1]
	v_pk_mul_f32 v[60:61], v[60:61], s[2:3] op_sel_hi:[1,0]
	v_pk_fma_f32 v[68:69], v[8:9], s[8:9], v[42:43] neg_lo:[0,0,1] neg_hi:[0,0,1]
	v_pk_add_f32 v[66:67], v[22:23], v[60:61] op_sel:[0,1] op_sel_hi:[1,0] neg_lo:[0,1] neg_hi:[0,1]
	v_pk_add_f32 v[22:23], v[22:23], v[60:61] op_sel:[0,1] op_sel_hi:[1,0]
	v_pk_fma_f32 v[42:43], v[8:9], s[8:9], v[42:43] op_sel_hi:[0,1,1]
	v_mov_b32_e32 v60, v66
	v_mov_b32_e32 v61, v23
	;; [unrolled: 1-line block ×3, first 2 shown]
	v_pk_add_f32 v[42:43], v[60:61], v[68:69]
	global_store_dwordx2 v[56:57], v[42:43], off offset:1952
	v_pk_mul_f32 v[42:43], v[18:19], s[2:3] op_sel_hi:[0,1]
	v_add_co_u32_e32 v32, vcc, s11, v32
	v_pk_fma_f32 v[70:71], v[16:17], s[6:7], v[42:43] op_sel_hi:[0,1,1] neg_lo:[0,0,1] neg_hi:[0,0,1]
	v_mov_b32_e32 v23, v67
	v_addc_co_u32_e32 v33, vcc, 0, v33, vcc
	v_pk_add_f32 v[42:43], v[22:23], v[70:71]
	v_pk_add_f32 v[40:41], v[40:41], v[34:35] neg_lo:[0,1] neg_hi:[0,1]
	global_load_dwordx4 v[32:35], v[32:33], off offset:200
	v_pk_add_f32 v[22:23], v[22:23], v[70:71] neg_lo:[0,1] neg_hi:[0,1]
	global_store_dwordx2 v[58:59], v[42:43], off offset:2176
	global_store_dwordx2 v[62:63], v[40:41], off offset:2400
	global_load_dwordx2 v[66:67], v[38:39], off offset:32
	s_nop 0
	global_load_dwordx4 v[40:43], v[38:39], off offset:16
	v_mov_b32_e32 v16, v47
	global_store_dwordx2 v[72:73], v[22:23], off offset:2848
	v_mov_b32_e32 v8, v19
	s_mov_b32 s0, 0xf2b9d649
	v_pk_add_f32 v[60:61], v[60:61], v[68:69] neg_lo:[0,1] neg_hi:[0,1]
	global_store_dwordx2 v[64:65], v[60:61], off offset:2624
	s_waitcnt vmcnt(13)
	v_pk_mul_f32 v[22:23], v[50:51], v[16:17] op_sel_hi:[1,0]
	v_mov_b32_e32 v16, v45
	v_pk_fma_f32 v[38:39], v[8:9], v[50:51], v[22:23] op_sel:[0,0,1] op_sel_hi:[1,1,0]
	v_pk_fma_f32 v[18:19], v[8:9], v[50:51], v[22:23] op_sel:[0,0,1] op_sel_hi:[0,1,0] neg_lo:[1,0,0] neg_hi:[1,0,0]
	v_mov_b32_e32 v39, v19
	v_mov_b32_e32 v8, v17
	v_pk_mul_f32 v[46:47], v[48:49], v[20:21] op_sel_hi:[1,0]
	s_waitcnt vmcnt(9)
	v_pk_mul_f32 v[18:19], v[54:55], v[16:17] op_sel_hi:[1,0]
	s_nop 0
	v_pk_fma_f32 v[22:23], v[8:9], v[54:55], v[18:19] op_sel:[0,0,1] op_sel_hi:[1,1,0]
	v_pk_fma_f32 v[16:17], v[8:9], v[54:55], v[18:19] op_sel:[0,0,1] op_sel_hi:[0,1,0] neg_lo:[1,0,0] neg_hi:[1,0,0]
	v_mov_b32_e32 v23, v17
	v_pk_mul_f32 v[16:17], v[52:53], v[26:27] op_sel_hi:[1,0]
	v_pk_fma_f32 v[50:51], v[2:3], v[48:49], v[46:47] op_sel:[0,0,1] op_sel_hi:[0,1,0]
	v_pk_fma_f32 v[18:19], v[6:7], v[52:53], v[16:17] op_sel:[0,0,1] op_sel_hi:[1,1,0]
	v_pk_fma_f32 v[16:17], v[6:7], v[52:53], v[16:17] op_sel:[0,0,1] op_sel_hi:[0,1,0] neg_lo:[1,0,0] neg_hi:[1,0,0]
	v_mov_b32_e32 v19, v17
	v_pk_mul_f32 v[16:17], v[80:81], v[24:25] op_sel_hi:[1,0]
	v_pk_fma_f32 v[46:47], v[2:3], v[48:49], v[46:47] op_sel:[0,0,1] op_sel_hi:[0,1,0] neg_lo:[1,0,0] neg_hi:[1,0,0]
	v_pk_fma_f32 v[44:45], v[4:5], v[80:81], v[16:17] op_sel:[0,0,1] op_sel_hi:[1,1,0]
	v_pk_fma_f32 v[16:17], v[4:5], v[80:81], v[16:17] op_sel:[0,0,1] op_sel_hi:[0,1,0] neg_lo:[1,0,0] neg_hi:[1,0,0]
	v_mov_b32_e32 v45, v17
	v_pk_add_f32 v[16:17], v[18:19], v[44:45]
	v_mov_b32_e32 v51, v47
	v_mov_b32_e32 v2, v50
	v_fmac_f32_e32 v2, -0.5, v16
	v_pk_add_f32 v[48:49], v[18:19], v[44:45] neg_lo:[0,1] neg_hi:[0,1]
	v_fmac_f32_e32 v47, -0.5, v17
	v_pk_add_f32 v[16:17], v[14:15], v[38:39]
	v_pk_add_f32 v[18:19], v[50:51], v[18:19]
	;; [unrolled: 1-line block ×4, first 2 shown]
	v_fmamk_f32 v6, v48, 0xbf5db3d7, v47
	v_fmac_f32_e32 v47, 0x3f5db3d7, v48
	v_pk_add_f32 v[44:45], v[16:17], v[18:19]
	global_store_dwordx2 v[36:37], v[44:45], off offset:2592
	v_pk_add_f32 v[44:45], v[38:39], v[22:23]
	v_pk_add_f32 v[22:23], v[38:39], v[22:23] neg_lo:[0,1] neg_hi:[0,1]
	v_mov_b32_e32 v8, v47
	v_fmamk_f32 v4, v49, 0x3f5db3d7, v2
	v_fmac_f32_e32 v2, 0xbf5db3d7, v49
	v_pk_fma_f32 v[14:15], v[44:45], 0.5, v[14:15] op_sel_hi:[1,0,1] neg_lo:[1,0,0] neg_hi:[1,0,0]
	v_pk_mul_f32 v[22:23], v[22:23], s[2:3] op_sel_hi:[1,0]
	v_pk_mul_f32 v[44:45], v[8:9], s[2:3] op_sel_hi:[0,1]
	v_pk_add_f32 v[38:39], v[14:15], v[22:23] op_sel:[0,1] op_sel_hi:[1,0] neg_lo:[0,1] neg_hi:[0,1]
	v_pk_add_f32 v[14:15], v[14:15], v[22:23] op_sel:[0,1] op_sel_hi:[1,0]
	v_pk_fma_f32 v[46:47], v[2:3], s[8:9], v[44:45] neg_lo:[0,0,1] neg_hi:[0,0,1]
	v_pk_fma_f32 v[44:45], v[2:3], s[8:9], v[44:45] op_sel_hi:[0,1,1]
	v_mov_b32_e32 v22, v38
	v_mov_b32_e32 v23, v15
	;; [unrolled: 1-line block ×3, first 2 shown]
	v_pk_add_f32 v[44:45], v[22:23], v[46:47]
	global_store_dwordx2 v[56:57], v[44:45], off offset:2816
	v_pk_mul_f32 v[44:45], v[6:7], s[2:3] op_sel_hi:[0,1]
	v_pk_fma_f32 v[44:45], v[4:5], s[6:7], v[44:45] op_sel_hi:[0,1,1] neg_lo:[0,0,1] neg_hi:[0,0,1]
	v_mov_b32_e32 v15, v39
	v_pk_add_f32 v[38:39], v[14:15], v[44:45]
	v_pk_add_f32 v[16:17], v[16:17], v[18:19] neg_lo:[0,1] neg_hi:[0,1]
	v_pk_add_f32 v[14:15], v[14:15], v[44:45] neg_lo:[0,1] neg_hi:[0,1]
	global_store_dwordx2 v[62:63], v[16:17], off offset:3264
	v_pk_add_f32 v[16:17], v[22:23], v[46:47] neg_lo:[0,1] neg_hi:[0,1]
	global_store_dwordx2 v[72:73], v[14:15], off offset:3712
	global_store_dwordx2 v[64:65], v[16:17], off offset:3488
	v_mul_hi_u32 v2, v83, s0
	v_lshrrev_b32_e32 v2, 9, v2
	v_mul_u32_u24_e32 v8, 0xa8c, v2
	v_mov_b32_e32 v2, v27
	v_lshl_add_u64 v[8:9], v[8:9], 3, v[36:37]
	s_waitcnt vmcnt(11)
	v_pk_mul_f32 v[14:15], v[34:35], v[30:31] op_sel_hi:[1,0]
	global_store_dwordx2 v[58:59], v[38:39], off offset:3040
	v_pk_fma_f32 v[16:17], v[12:13], v[34:35], v[14:15] op_sel:[0,0,1] op_sel_hi:[1,1,0]
	v_pk_fma_f32 v[12:13], v[12:13], v[34:35], v[14:15] op_sel:[0,0,1] op_sel_hi:[0,1,0] neg_lo:[1,0,0] neg_hi:[1,0,0]
	v_mov_b32_e32 v17, v13
	s_waitcnt vmcnt(8)
	v_pk_mul_f32 v[12:13], v[42:43], v[28:29] op_sel_hi:[1,0]
	s_nop 0
	v_pk_fma_f32 v[14:15], v[10:11], v[42:43], v[12:13] op_sel:[0,0,1] op_sel_hi:[1,1,0]
	v_pk_fma_f32 v[10:11], v[10:11], v[42:43], v[12:13] op_sel:[0,0,1] op_sel_hi:[0,1,0] neg_lo:[1,0,0] neg_hi:[1,0,0]
	v_mov_b32_e32 v15, v11
	v_pk_mul_f32 v[10:11], v[40:41], v[2:3] op_sel_hi:[1,0]
	v_mov_b32_e32 v2, v7
	v_pk_fma_f32 v[12:13], v[2:3], v[40:41], v[10:11] op_sel:[0,0,1] op_sel_hi:[1,1,0]
	v_pk_fma_f32 v[6:7], v[2:3], v[40:41], v[10:11] op_sel:[0,0,1] op_sel_hi:[0,1,0] neg_lo:[1,0,0] neg_hi:[1,0,0]
	v_mov_b32_e32 v2, v25
	v_mov_b32_e32 v13, v7
	v_pk_mul_f32 v[6:7], v[66:67], v[2:3] op_sel_hi:[1,0]
	v_mov_b32_e32 v2, v5
	v_pk_fma_f32 v[10:11], v[2:3], v[66:67], v[6:7] op_sel:[0,0,1] op_sel_hi:[1,1,0]
	v_pk_fma_f32 v[4:5], v[2:3], v[66:67], v[6:7] op_sel:[0,0,1] op_sel_hi:[0,1,0] neg_lo:[1,0,0] neg_hi:[1,0,0]
	v_mov_b32_e32 v2, v21
	v_pk_mul_f32 v[6:7], v[32:33], v[2:3] op_sel_hi:[1,0]
	v_mov_b32_e32 v2, v3
	v_mov_b32_e32 v11, v5
	v_pk_fma_f32 v[18:19], v[2:3], v[32:33], v[6:7] op_sel:[0,0,1] op_sel_hi:[0,1,0]
	v_pk_fma_f32 v[2:3], v[2:3], v[32:33], v[6:7] op_sel:[0,0,1] op_sel_hi:[0,1,0] neg_lo:[1,0,0] neg_hi:[1,0,0]
	v_pk_add_f32 v[4:5], v[12:13], v[10:11]
	v_mov_b32_e32 v2, v18
	v_mov_b32_e32 v19, v3
	v_fmac_f32_e32 v2, -0.5, v4
	v_pk_add_f32 v[6:7], v[12:13], v[10:11] neg_lo:[0,1] neg_hi:[0,1]
	v_fmac_f32_e32 v3, -0.5, v5
	v_fmamk_f32 v4, v7, 0x3f5db3d7, v2
	v_fmamk_f32 v20, v6, 0xbf5db3d7, v3
	v_fmac_f32_e32 v2, 0xbf5db3d7, v7
	v_fmac_f32_e32 v3, 0x3f5db3d7, v6
	v_pk_add_f32 v[6:7], v[0:1], v[16:17]
	v_pk_add_f32 v[12:13], v[18:19], v[12:13]
	;; [unrolled: 1-line block ×4, first 2 shown]
	s_nop 0
	v_pk_add_f32 v[12:13], v[6:7], v[10:11]
	global_store_dwordx2 v[8:9], v[12:13], off offset:3456
	v_pk_add_f32 v[12:13], v[16:17], v[14:15]
	s_nop 0
	v_pk_fma_f32 v[0:1], v[12:13], 0.5, v[0:1] op_sel_hi:[1,0,1] neg_lo:[1,0,0] neg_hi:[1,0,0]
	v_pk_add_f32 v[12:13], v[16:17], v[14:15] neg_lo:[0,1] neg_hi:[0,1]
	s_nop 0
	v_pk_mul_f32 v[12:13], v[12:13], s[2:3] op_sel_hi:[1,0]
	s_nop 0
	v_pk_add_f32 v[14:15], v[0:1], v[12:13] op_sel:[0,1] op_sel_hi:[1,0] neg_lo:[0,1] neg_hi:[0,1]
	v_pk_add_f32 v[0:1], v[0:1], v[12:13] op_sel:[0,1] op_sel_hi:[1,0]
	v_mov_b32_e32 v12, v14
	v_mov_b32_e32 v14, v3
	v_pk_mul_f32 v[16:17], v[14:15], s[2:3] op_sel_hi:[0,1]
	v_pk_fma_f32 v[18:19], v[2:3], s[8:9], v[16:17] neg_lo:[0,0,1] neg_hi:[0,0,1]
	v_pk_fma_f32 v[2:3], v[2:3], s[8:9], v[16:17] op_sel_hi:[0,1,1]
	v_mov_b32_e32 v13, v1
	v_mov_b32_e32 v19, v3
	v_add_co_u32_e32 v16, vcc, s11, v8
	v_pk_add_f32 v[2:3], v[12:13], v[18:19]
	s_nop 0
	v_addc_co_u32_e32 v17, vcc, 0, v9, vcc
	global_store_dwordx2 v[16:17], v[2:3], off offset:3680
	v_pk_mul_f32 v[2:3], v[20:21], s[2:3] op_sel_hi:[0,1]
	v_pk_fma_f32 v[2:3], v[4:5], s[6:7], v[2:3] op_sel_hi:[0,1,1] neg_lo:[0,0,1] neg_hi:[0,0,1]
	v_mov_b32_e32 v1, v15
	v_add_co_u32_e32 v14, vcc, s10, v8
	v_pk_add_f32 v[4:5], v[0:1], v[2:3]
	s_nop 0
	v_addc_co_u32_e32 v15, vcc, 0, v9, vcc
	global_store_dwordx2 v[14:15], v[4:5], off offset:3904
	v_pk_add_f32 v[4:5], v[6:7], v[10:11] neg_lo:[0,1] neg_hi:[0,1]
	v_add_co_u32_e32 v6, vcc, 0x4000, v8
	v_pk_add_f32 v[0:1], v[0:1], v[2:3] neg_lo:[0,1] neg_hi:[0,1]
	s_nop 0
	v_addc_co_u32_e32 v7, vcc, 0, v9, vcc
	global_store_dwordx2 v[6:7], v[4:5], off offset:32
	v_add_co_u32_e32 v6, vcc, 0x5000, v8
	v_pk_add_f32 v[4:5], v[12:13], v[18:19] neg_lo:[0,1] neg_hi:[0,1]
	s_nop 0
	v_addc_co_u32_e32 v7, vcc, 0, v9, vcc
	v_add_co_u32_e32 v2, vcc, 0x6000, v8
	global_store_dwordx2 v[6:7], v[4:5], off offset:256
	s_nop 0
	v_addc_co_u32_e32 v3, vcc, 0, v9, vcc
	global_store_dwordx2 v[2:3], v[0:1], off offset:480
.LBB0_13:
	s_endpgm
	.section	.rodata,"a",@progbits
	.p2align	6, 0x0
	.amdhsa_kernel fft_rtc_back_len3240_factors_3_3_10_6_6_wgs_108_tpt_108_halfLds_sp_ip_CI_unitstride_sbrr_dirReg
		.amdhsa_group_segment_fixed_size 0
		.amdhsa_private_segment_fixed_size 0
		.amdhsa_kernarg_size 88
		.amdhsa_user_sgpr_count 2
		.amdhsa_user_sgpr_dispatch_ptr 0
		.amdhsa_user_sgpr_queue_ptr 0
		.amdhsa_user_sgpr_kernarg_segment_ptr 1
		.amdhsa_user_sgpr_dispatch_id 0
		.amdhsa_user_sgpr_kernarg_preload_length 0
		.amdhsa_user_sgpr_kernarg_preload_offset 0
		.amdhsa_user_sgpr_private_segment_size 0
		.amdhsa_uses_dynamic_stack 0
		.amdhsa_enable_private_segment 0
		.amdhsa_system_sgpr_workgroup_id_x 1
		.amdhsa_system_sgpr_workgroup_id_y 0
		.amdhsa_system_sgpr_workgroup_id_z 0
		.amdhsa_system_sgpr_workgroup_info 0
		.amdhsa_system_vgpr_workitem_id 0
		.amdhsa_next_free_vgpr 154
		.amdhsa_next_free_sgpr 22
		.amdhsa_accum_offset 156
		.amdhsa_reserve_vcc 1
		.amdhsa_float_round_mode_32 0
		.amdhsa_float_round_mode_16_64 0
		.amdhsa_float_denorm_mode_32 3
		.amdhsa_float_denorm_mode_16_64 3
		.amdhsa_dx10_clamp 1
		.amdhsa_ieee_mode 1
		.amdhsa_fp16_overflow 0
		.amdhsa_tg_split 0
		.amdhsa_exception_fp_ieee_invalid_op 0
		.amdhsa_exception_fp_denorm_src 0
		.amdhsa_exception_fp_ieee_div_zero 0
		.amdhsa_exception_fp_ieee_overflow 0
		.amdhsa_exception_fp_ieee_underflow 0
		.amdhsa_exception_fp_ieee_inexact 0
		.amdhsa_exception_int_div_zero 0
	.end_amdhsa_kernel
	.text
.Lfunc_end0:
	.size	fft_rtc_back_len3240_factors_3_3_10_6_6_wgs_108_tpt_108_halfLds_sp_ip_CI_unitstride_sbrr_dirReg, .Lfunc_end0-fft_rtc_back_len3240_factors_3_3_10_6_6_wgs_108_tpt_108_halfLds_sp_ip_CI_unitstride_sbrr_dirReg
                                        ; -- End function
	.section	.AMDGPU.csdata,"",@progbits
; Kernel info:
; codeLenInByte = 16252
; NumSgprs: 28
; NumVgprs: 154
; NumAgprs: 0
; TotalNumVgprs: 154
; ScratchSize: 0
; MemoryBound: 0
; FloatMode: 240
; IeeeMode: 1
; LDSByteSize: 0 bytes/workgroup (compile time only)
; SGPRBlocks: 3
; VGPRBlocks: 19
; NumSGPRsForWavesPerEU: 28
; NumVGPRsForWavesPerEU: 154
; AccumOffset: 156
; Occupancy: 3
; WaveLimiterHint : 1
; COMPUTE_PGM_RSRC2:SCRATCH_EN: 0
; COMPUTE_PGM_RSRC2:USER_SGPR: 2
; COMPUTE_PGM_RSRC2:TRAP_HANDLER: 0
; COMPUTE_PGM_RSRC2:TGID_X_EN: 1
; COMPUTE_PGM_RSRC2:TGID_Y_EN: 0
; COMPUTE_PGM_RSRC2:TGID_Z_EN: 0
; COMPUTE_PGM_RSRC2:TIDIG_COMP_CNT: 0
; COMPUTE_PGM_RSRC3_GFX90A:ACCUM_OFFSET: 38
; COMPUTE_PGM_RSRC3_GFX90A:TG_SPLIT: 0
	.text
	.p2alignl 6, 3212836864
	.fill 256, 4, 3212836864
	.type	__hip_cuid_34b938ce6decf644,@object ; @__hip_cuid_34b938ce6decf644
	.section	.bss,"aw",@nobits
	.globl	__hip_cuid_34b938ce6decf644
__hip_cuid_34b938ce6decf644:
	.byte	0                               ; 0x0
	.size	__hip_cuid_34b938ce6decf644, 1

	.ident	"AMD clang version 19.0.0git (https://github.com/RadeonOpenCompute/llvm-project roc-6.4.0 25133 c7fe45cf4b819c5991fe208aaa96edf142730f1d)"
	.section	".note.GNU-stack","",@progbits
	.addrsig
	.addrsig_sym __hip_cuid_34b938ce6decf644
	.amdgpu_metadata
---
amdhsa.kernels:
  - .agpr_count:     0
    .args:
      - .actual_access:  read_only
        .address_space:  global
        .offset:         0
        .size:           8
        .value_kind:     global_buffer
      - .offset:         8
        .size:           8
        .value_kind:     by_value
      - .actual_access:  read_only
        .address_space:  global
        .offset:         16
        .size:           8
        .value_kind:     global_buffer
      - .actual_access:  read_only
        .address_space:  global
        .offset:         24
        .size:           8
        .value_kind:     global_buffer
      - .offset:         32
        .size:           8
        .value_kind:     by_value
      - .actual_access:  read_only
        .address_space:  global
        .offset:         40
        .size:           8
        .value_kind:     global_buffer
      - .actual_access:  read_only
        .address_space:  global
        .offset:         48
        .size:           8
        .value_kind:     global_buffer
      - .offset:         56
        .size:           4
        .value_kind:     by_value
      - .actual_access:  read_only
        .address_space:  global
        .offset:         64
        .size:           8
        .value_kind:     global_buffer
      - .actual_access:  read_only
        .address_space:  global
        .offset:         72
        .size:           8
        .value_kind:     global_buffer
      - .address_space:  global
        .offset:         80
        .size:           8
        .value_kind:     global_buffer
    .group_segment_fixed_size: 0
    .kernarg_segment_align: 8
    .kernarg_segment_size: 88
    .language:       OpenCL C
    .language_version:
      - 2
      - 0
    .max_flat_workgroup_size: 108
    .name:           fft_rtc_back_len3240_factors_3_3_10_6_6_wgs_108_tpt_108_halfLds_sp_ip_CI_unitstride_sbrr_dirReg
    .private_segment_fixed_size: 0
    .sgpr_count:     28
    .sgpr_spill_count: 0
    .symbol:         fft_rtc_back_len3240_factors_3_3_10_6_6_wgs_108_tpt_108_halfLds_sp_ip_CI_unitstride_sbrr_dirReg.kd
    .uniform_work_group_size: 1
    .uses_dynamic_stack: false
    .vgpr_count:     154
    .vgpr_spill_count: 0
    .wavefront_size: 64
amdhsa.target:   amdgcn-amd-amdhsa--gfx950
amdhsa.version:
  - 1
  - 2
...

	.end_amdgpu_metadata
